;; amdgpu-corpus repo=ROCm/rocFFT kind=compiled arch=gfx950 opt=O3
	.text
	.amdgcn_target "amdgcn-amd-amdhsa--gfx950"
	.amdhsa_code_object_version 6
	.protected	bluestein_single_back_len405_dim1_sp_op_CI_CI ; -- Begin function bluestein_single_back_len405_dim1_sp_op_CI_CI
	.globl	bluestein_single_back_len405_dim1_sp_op_CI_CI
	.p2align	8
	.type	bluestein_single_back_len405_dim1_sp_op_CI_CI,@function
bluestein_single_back_len405_dim1_sp_op_CI_CI: ; @bluestein_single_back_len405_dim1_sp_op_CI_CI
; %bb.0:
	s_load_dwordx4 s[12:15], s[0:1], 0x28
	v_mul_u32_u24_e32 v1, 0x97c, v0
	v_lshrrev_b32_e32 v1, 16, v1
	v_lshl_add_u32 v98, s2, 2, v1
	v_mov_b32_e32 v99, 0
	s_waitcnt lgkmcnt(0)
	v_cmp_gt_u64_e32 vcc, s[12:13], v[98:99]
	s_and_saveexec_b64 s[2:3], vcc
	s_cbranch_execz .LBB0_2
; %bb.1:
	s_load_dwordx4 s[4:7], s[0:1], 0x18
	s_load_dwordx4 s[8:11], s[0:1], 0x0
	v_mov_b32_e32 v2, s14
	v_mov_b32_e32 v3, s15
	v_mul_lo_u16_e32 v4, 27, v1
	s_waitcnt lgkmcnt(0)
	s_load_dwordx4 s[12:15], s[4:5], 0x0
	v_sub_u16_e32 v106, v0, v4
	v_mov_b32_e32 v99, 0x288
	v_lshlrev_b32_e32 v121, 3, v106
	global_load_dwordx2 v[112:113], v121, s[8:9]
	global_load_dwordx2 v[110:111], v121, s[8:9] offset:648
	global_load_dwordx2 v[108:109], v121, s[8:9] offset:1296
	s_waitcnt lgkmcnt(0)
	v_mad_u64_u32 v[4:5], s[2:3], s14, v98, 0
	v_mov_b32_e32 v0, v5
	v_mad_u64_u32 v[6:7], s[2:3], s15, v98, v[0:1]
	v_mov_b32_e32 v5, v6
	;; [unrolled: 2-line block ×4, first 2 shown]
	v_lshl_add_u64 v[2:3], v[4:5], 3, v[2:3]
	v_lshl_add_u64 v[2:3], v[6:7], 3, v[2:3]
	global_load_dwordx2 v[4:5], v[2:3], off
	v_mad_u64_u32 v[2:3], s[2:3], s12, v99, v[2:3]
	s_mul_i32 s4, s13, 0x288
	v_add_u32_e32 v3, s4, v3
	v_mad_u64_u32 v[6:7], s[2:3], s12, v99, v[2:3]
	v_add_u32_e32 v7, s4, v7
	v_mad_u64_u32 v[8:9], s[2:3], s12, v99, v[6:7]
	v_add_u32_e32 v9, s4, v9
	global_load_dwordx2 v[104:105], v121, s[8:9] offset:1944
	global_load_dwordx2 v[10:11], v[2:3], off
	v_mad_u64_u32 v[2:3], s[2:3], s12, v99, v[8:9]
	v_add_u32_e32 v3, s4, v3
	v_mov_b32_e32 v115, 0xfffff6b8
	global_load_dwordx2 v[12:13], v[6:7], off
	global_load_dwordx2 v[14:15], v[8:9], off
	;; [unrolled: 1-line block ×3, first 2 shown]
	global_load_dwordx2 v[100:101], v121, s[8:9] offset:2592
	v_mad_u64_u32 v[2:3], s[2:3], s12, v115, v[2:3]
	s_add_u32 s16, s8, 0xca8
	s_mul_i32 s2, s13, 0xfffff6b8
	s_addc_u32 s17, s9, 0
	s_sub_i32 s5, s2, s12
	v_add_u32_e32 v3, s5, v3
	global_load_dwordx2 v[6:7], v[2:3], off
	global_load_dwordx2 v[102:103], v121, s[8:9] offset:216
	v_mad_u64_u32 v[2:3], s[2:3], s12, v99, v[2:3]
	v_add_u32_e32 v3, s4, v3
	global_load_dwordx2 v[8:9], v[2:3], off
	global_load_dwordx2 v[96:97], v121, s[8:9] offset:864
	v_mad_u64_u32 v[2:3], s[2:3], s12, v99, v[2:3]
	;; [unrolled: 4-line block ×7, first 2 shown]
	v_add_u32_e32 v3, s4, v3
	global_load_dwordx2 v[28:29], v[2:3], off
	global_load_dwordx2 v[82:83], v121, s[8:9] offset:2376
	global_load_dwordx2 v[92:93], v121, s[8:9] offset:1728
	v_mad_u64_u32 v[2:3], s[2:3], s12, v99, v[2:3]
	v_add_u32_e32 v3, s4, v3
	global_load_dwordx2 v[30:31], v[2:3], off
	v_mad_u64_u32 v[2:3], s[2:3], s12, v99, v[2:3]
	v_add_u32_e32 v3, s4, v3
	global_load_dwordx2 v[32:33], v[2:3], off
	global_load_dwordx2 v[80:81], v121, s[8:9] offset:3024
	v_and_b32_e32 v0, 3, v1
	v_mul_u32_u24_e32 v1, 0x195, v0
	v_lshlrev_b32_e32 v48, 3, v1
	v_add_u32_e32 v117, v48, v121
	v_add_u32_e32 v119, 0x800, v117
	s_load_dwordx4 s[4:7], s[6:7], 0x0
	s_mov_b32 s12, 0x3f737871
	s_mov_b32 s18, 0x3f167918
	;; [unrolled: 1-line block ×4, first 2 shown]
	v_mov_b32_e32 v107, s2
	v_lshl_add_u64 v[64:65], v[106:107], 0, 27
	v_lshl_add_u64 v[68:69], v[106:107], 0, 54
	s_mov_b64 s[2:3], 0x51
	v_lshl_add_u64 v[72:73], v[106:107], 0, s[2:3]
	s_mov_b64 s[2:3], 0x6c
	v_lshl_add_u64 v[76:77], v[106:107], 0, s[2:3]
	s_movk_i32 s2, 0xcd
	v_mov_b32_e32 v44, 4
	s_waitcnt vmcnt(26)
	v_mul_f32_e32 v0, v5, v113
	v_mul_f32_e32 v1, v4, v113
	v_fmac_f32_e32 v0, v4, v112
	v_fma_f32 v1, v5, v112, -v1
	v_cmp_gt_u16_e32 vcc, 15, v106
	s_movk_i32 s20, 0xffee
	s_mov_b32 s21, -1
	s_load_dwordx2 s[0:1], s[0:1], 0x38
	s_waitcnt vmcnt(24)
	v_mul_f32_e32 v2, v11, v111
	v_mul_f32_e32 v3, v10, v111
	v_fmac_f32_e32 v2, v10, v110
	v_fma_f32 v3, v11, v110, -v3
	ds_write_b64 v117, v[2:3] offset:648
	s_waitcnt vmcnt(23)
	v_mul_f32_e32 v2, v13, v109
	v_mul_f32_e32 v3, v12, v109
	v_fmac_f32_e32 v2, v12, v108
	v_fma_f32 v3, v13, v108, -v3
	ds_write_b64 v117, v[2:3] offset:1296
	;; [unrolled: 6-line block ×4, first 2 shown]
	s_waitcnt vmcnt(18)
	v_mul_f32_e32 v2, v7, v103
	v_mul_f32_e32 v3, v6, v103
	v_fmac_f32_e32 v2, v6, v102
	v_fma_f32 v3, v7, v102, -v3
	ds_write2_b64 v117, v[0:1], v[2:3] offset1:27
	s_waitcnt vmcnt(16)
	v_mul_f32_e32 v0, v9, v97
	v_mul_f32_e32 v1, v8, v97
	v_fmac_f32_e32 v0, v8, v96
	v_fma_f32 v1, v9, v96, -v1
	s_waitcnt vmcnt(14)
	v_mul_f32_e32 v2, v19, v95
	v_mul_f32_e32 v3, v18, v95
	v_fmac_f32_e32 v2, v18, v94
	v_fma_f32 v3, v19, v94, -v3
	;; [unrolled: 5-line block ×3, first 2 shown]
	ds_write_b64 v117, v[8:9] offset:432
	s_waitcnt vmcnt(6)
	v_mul_f32_e32 v8, v27, v85
	v_mul_f32_e32 v9, v26, v85
	v_fmac_f32_e32 v8, v26, v84
	v_fma_f32 v9, v27, v84, -v9
	ds_write2_b64 v117, v[0:1], v[8:9] offset0:108 offset1:135
	s_waitcnt vmcnt(3)
	v_mul_f32_e32 v0, v29, v93
	v_mul_f32_e32 v1, v28, v93
	v_fmac_f32_e32 v0, v28, v92
	v_fma_f32 v1, v29, v92, -v1
	v_mul_f32_e32 v4, v21, v91
	v_mul_f32_e32 v5, v20, v91
	ds_write2_b64 v117, v[2:3], v[0:1] offset0:189 offset1:216
	s_waitcnt vmcnt(2)
	v_mul_f32_e32 v0, v31, v83
	v_mul_f32_e32 v1, v30, v83
	v_fmac_f32_e32 v4, v20, v90
	v_fma_f32 v5, v21, v90, -v5
	v_fmac_f32_e32 v0, v30, v82
	v_fma_f32 v1, v31, v82, -v1
	v_mul_f32_e32 v6, v23, v89
	v_mul_f32_e32 v7, v22, v89
	ds_write2_b64 v119, v[4:5], v[0:1] offset0:14 offset1:41
	s_waitcnt vmcnt(0)
	v_mul_f32_e32 v0, v33, v81
	v_mul_f32_e32 v1, v32, v81
	v_fmac_f32_e32 v6, v22, v88
	v_fma_f32 v7, v23, v88, -v7
	v_fmac_f32_e32 v0, v32, v80
	v_fma_f32 v1, v33, v80, -v1
	ds_write2_b64 v119, v[6:7], v[0:1] offset0:95 offset1:122
	v_mul_lo_u16_e32 v0, 5, v106
	s_waitcnt lgkmcnt(0)
	s_barrier
	v_lshl_add_u32 v123, v0, 3, v48
	ds_read2_b64 v[0:3], v117 offset1:27
	ds_read2_b64 v[4:7], v117 offset0:162 offset1:189
	ds_read2_b64 v[8:11], v119 offset0:68 offset1:95
	;; [unrolled: 1-line block ×4, first 2 shown]
	ds_read_b64 v[28:29], v117 offset:3024
	s_waitcnt lgkmcnt(2)
	v_pk_add_f32 v[20:21], v[4:5], v[14:15]
	s_waitcnt lgkmcnt(1)
	v_pk_add_f32 v[30:31], v[18:19], v[8:9] neg_lo:[0,1] neg_hi:[0,1]
	v_pk_fma_f32 v[20:21], v[20:21], 0.5, v[0:1] op_sel_hi:[1,0,1] neg_lo:[1,0,0] neg_hi:[1,0,0]
	v_pk_mul_f32 v[22:23], v[30:31], s[12:13] op_sel_hi:[1,0]
	v_pk_add_f32 v[32:33], v[4:5], v[14:15] neg_lo:[0,1] neg_hi:[0,1]
	v_pk_add_f32 v[24:25], v[18:19], v[4:5] neg_lo:[0,1] neg_hi:[0,1]
	;; [unrolled: 1-line block ×3, first 2 shown]
	s_nop 0
	v_pk_add_f32 v[34:35], v[24:25], v[26:27]
	v_pk_add_f32 v[24:25], v[20:21], v[22:23] op_sel:[0,1] op_sel_hi:[1,0]
	v_pk_add_f32 v[20:21], v[20:21], v[22:23] op_sel:[0,1] op_sel_hi:[1,0] neg_lo:[0,1] neg_hi:[0,1]
	v_pk_mul_f32 v[22:23], v[32:33], s[18:19] op_sel_hi:[1,0]
	s_nop 0
	v_pk_add_f32 v[36:37], v[20:21], v[22:23] op_sel:[0,1] op_sel_hi:[1,0] neg_lo:[0,1] neg_hi:[0,1]
	v_pk_add_f32 v[20:21], v[0:1], v[18:19]
	v_pk_add_f32 v[38:39], v[24:25], v[22:23] op_sel:[0,1] op_sel_hi:[1,0]
	v_pk_add_f32 v[20:21], v[20:21], v[4:5]
	v_pk_add_f32 v[4:5], v[4:5], v[18:19] neg_lo:[0,1] neg_hi:[0,1]
	v_pk_add_f32 v[20:21], v[20:21], v[14:15]
	v_pk_add_f32 v[14:15], v[14:15], v[8:9] neg_lo:[0,1] neg_hi:[0,1]
	v_pk_add_f32 v[40:41], v[20:21], v[8:9]
	v_pk_add_f32 v[8:9], v[18:19], v[8:9]
	ds_read2_b64 v[20:23], v117 offset0:108 offset1:135
	ds_read2_b64 v[24:27], v119 offset0:14 offset1:41
	v_pk_fma_f32 v[0:1], v[8:9], 0.5, v[0:1] op_sel_hi:[1,0,1] neg_lo:[1,0,0] neg_hi:[1,0,0]
	v_pk_mul_f32 v[8:9], v[32:33], s[12:13] op_sel_hi:[1,0]
	v_pk_add_f32 v[4:5], v[4:5], v[14:15]
	v_pk_add_f32 v[14:15], v[0:1], v[8:9] op_sel:[0,1] op_sel_hi:[1,0] neg_lo:[0,1] neg_hi:[0,1]
	v_pk_add_f32 v[0:1], v[0:1], v[8:9] op_sel:[0,1] op_sel_hi:[1,0]
	v_pk_mul_f32 v[8:9], v[30:31], s[18:19] op_sel_hi:[1,0]
	s_waitcnt lgkmcnt(0)
	v_pk_add_f32 v[0:1], v[0:1], v[8:9] op_sel:[0,1] op_sel_hi:[1,0] neg_lo:[0,1] neg_hi:[0,1]
	v_pk_add_f32 v[8:9], v[14:15], v[8:9] op_sel:[0,1] op_sel_hi:[1,0]
	v_mov_b32_e32 v15, v1
	v_mov_b32_e32 v14, v8
	;; [unrolled: 1-line block ×3, first 2 shown]
	v_pk_fma_f32 v[8:9], v[4:5], s[14:15], v[14:15] op_sel_hi:[1,0,1]
	v_pk_fma_f32 v[0:1], v[4:5], s[14:15], v[0:1] op_sel_hi:[1,0,1]
	s_barrier
	ds_write2_b64 v123, v[8:9], v[0:1] offset0:2 offset1:3
	v_pk_add_f32 v[0:1], v[6:7], v[24:25]
	v_pk_add_f32 v[4:5], v[20:21], v[10:11]
	v_pk_fma_f32 v[0:1], v[0:1], 0.5, v[2:3] op_sel_hi:[1,0,1] neg_lo:[1,0,0] neg_hi:[1,0,0]
	v_pk_fma_f32 v[4:5], v[4:5], 0.5, v[2:3] op_sel_hi:[1,0,1] neg_lo:[1,0,0] neg_hi:[1,0,0]
	v_pk_add_f32 v[2:3], v[2:3], v[20:21]
	v_pk_add_f32 v[8:9], v[20:21], v[6:7] neg_lo:[0,1] neg_hi:[0,1]
	v_pk_add_f32 v[14:15], v[10:11], v[24:25] neg_lo:[0,1] neg_hi:[0,1]
	v_pk_add_f32 v[2:3], v[2:3], v[6:7]
	v_pk_add_f32 v[8:9], v[8:9], v[14:15]
	v_pk_add_f32 v[14:15], v[20:21], v[10:11] neg_lo:[0,1] neg_hi:[0,1]
	v_pk_add_f32 v[2:3], v[2:3], v[24:25]
	v_pk_mul_f32 v[18:19], v[14:15], s[12:13] op_sel_hi:[1,0]
	v_pk_add_f32 v[2:3], v[2:3], v[10:11]
	v_pk_add_f32 v[30:31], v[0:1], v[18:19] op_sel:[0,1] op_sel_hi:[1,0]
	v_pk_add_f32 v[0:1], v[0:1], v[18:19] op_sel:[0,1] op_sel_hi:[1,0] neg_lo:[0,1] neg_hi:[0,1]
	v_pk_add_f32 v[18:19], v[6:7], v[24:25] neg_lo:[0,1] neg_hi:[0,1]
	v_pk_add_f32 v[6:7], v[6:7], v[20:21] neg_lo:[0,1] neg_hi:[0,1]
	;; [unrolled: 1-line block ×3, first 2 shown]
	v_pk_mul_f32 v[32:33], v[18:19], s[18:19] op_sel_hi:[1,0]
	v_pk_add_f32 v[6:7], v[6:7], v[10:11]
	v_pk_mul_f32 v[10:11], v[18:19], s[12:13] op_sel_hi:[1,0]
	v_pk_add_f32 v[0:1], v[0:1], v[32:33] op_sel:[0,1] op_sel_hi:[1,0] neg_lo:[0,1] neg_hi:[0,1]
	v_pk_add_f32 v[18:19], v[4:5], v[10:11] op_sel:[0,1] op_sel_hi:[1,0] neg_lo:[0,1] neg_hi:[0,1]
	v_pk_add_f32 v[4:5], v[4:5], v[10:11] op_sel:[0,1] op_sel_hi:[1,0]
	v_pk_mul_f32 v[10:11], v[14:15], s[18:19] op_sel_hi:[1,0]
	v_pk_add_f32 v[30:31], v[30:31], v[32:33] op_sel:[0,1] op_sel_hi:[1,0]
	v_pk_add_f32 v[4:5], v[4:5], v[10:11] op_sel:[0,1] op_sel_hi:[1,0] neg_lo:[0,1] neg_hi:[0,1]
	v_pk_add_f32 v[10:11], v[18:19], v[10:11] op_sel:[0,1] op_sel_hi:[1,0]
	v_mov_b32_e32 v15, v5
	v_mov_b32_e32 v14, v10
	;; [unrolled: 1-line block ×5, first 2 shown]
	v_pk_fma_f32 v[10:11], v[6:7], s[14:15], v[14:15] op_sel_hi:[1,0,1]
	v_pk_fma_f32 v[4:5], v[6:7], s[14:15], v[4:5] op_sel_hi:[1,0,1]
	v_mov_b32_e32 v6, v30
	v_mov_b32_e32 v7, v1
	;; [unrolled: 1-line block ×4, first 2 shown]
	v_pk_fma_f32 v[42:43], v[34:35], s[14:15], v[42:43] op_sel_hi:[1,0,1]
	v_pk_fma_f32 v[6:7], v[8:9], s[14:15], v[6:7] op_sel_hi:[1,0,1]
	;; [unrolled: 1-line block ×4, first 2 shown]
	v_mul_u32_u24_e32 v14, 5, v64
	ds_write2_b64 v123, v[40:41], v[42:43] offset1:1
	v_lshl_add_u32 v127, v14, 3, v48
	ds_write_b64 v123, v[8:9] offset:32
	ds_write2_b64 v127, v[2:3], v[6:7] offset1:1
	ds_write2_b64 v127, v[10:11], v[4:5] offset0:2 offset1:3
	ds_write_b64 v127, v[0:1] offset:32
	v_pk_add_f32 v[0:1], v[12:13], v[26:27]
	v_pk_add_f32 v[2:3], v[22:23], v[28:29] neg_lo:[0,1] neg_hi:[0,1]
	v_pk_fma_f32 v[0:1], v[0:1], 0.5, v[16:17] op_sel_hi:[1,0,1] neg_lo:[1,0,0] neg_hi:[1,0,0]
	v_pk_mul_f32 v[4:5], v[2:3], s[12:13] op_sel_hi:[1,0]
	v_pk_add_f32 v[6:7], v[12:13], v[26:27] neg_lo:[0,1] neg_hi:[0,1]
	v_pk_add_f32 v[8:9], v[22:23], v[12:13] neg_lo:[0,1] neg_hi:[0,1]
	;; [unrolled: 1-line block ×3, first 2 shown]
	v_pk_mul_f32 v[2:3], v[2:3], s[18:19] op_sel_hi:[1,0]
	v_pk_add_f32 v[8:9], v[8:9], v[10:11]
	v_pk_add_f32 v[10:11], v[0:1], v[4:5] op_sel:[0,1] op_sel_hi:[1,0]
	v_pk_add_f32 v[0:1], v[0:1], v[4:5] op_sel:[0,1] op_sel_hi:[1,0] neg_lo:[0,1] neg_hi:[0,1]
	v_pk_mul_f32 v[4:5], v[6:7], s[18:19] op_sel_hi:[1,0]
	v_pk_mul_f32 v[6:7], v[6:7], s[12:13] op_sel_hi:[1,0]
	v_pk_add_f32 v[0:1], v[0:1], v[4:5] op_sel:[0,1] op_sel_hi:[1,0] neg_lo:[0,1] neg_hi:[0,1]
	v_pk_add_f32 v[4:5], v[10:11], v[4:5] op_sel:[0,1] op_sel_hi:[1,0]
	v_mul_u32_u24_e32 v10, 5, v68
	v_lshl_add_u32 v125, v10, 3, v48
	v_pk_add_f32 v[10:11], v[16:17], v[22:23]
	v_mov_b32_e32 v14, v4
	v_pk_add_f32 v[10:11], v[10:11], v[12:13]
	v_mov_b32_e32 v15, v1
	;; [unrolled: 2-line block ×3, first 2 shown]
	v_pk_add_f32 v[10:11], v[10:11], v[28:29]
	v_pk_fma_f32 v[14:15], v[8:9], s[14:15], v[14:15] op_sel_hi:[1,0,1]
	v_pk_fma_f32 v[0:1], v[8:9], s[14:15], v[0:1] op_sel_hi:[1,0,1]
	ds_write2_b64 v125, v[10:11], v[14:15] offset1:1
	v_pk_add_f32 v[10:11], v[12:13], v[22:23] neg_lo:[0,1] neg_hi:[0,1]
	v_pk_add_f32 v[12:13], v[22:23], v[28:29]
	ds_write_b64 v125, v[0:1] offset:32
	v_mul_lo_u16_sdwa v0, v72, s2 dst_sel:DWORD dst_unused:UNUSED_PAD src0_sel:BYTE_0 src1_sel:DWORD
	v_pk_fma_f32 v[12:13], v[12:13], 0.5, v[16:17] op_sel_hi:[1,0,1] neg_lo:[1,0,0] neg_hi:[1,0,0]
	v_pk_add_f32 v[14:15], v[26:27], v[28:29] neg_lo:[0,1] neg_hi:[0,1]
	v_lshrrev_b16_e32 v45, 10, v0
	v_mul_lo_u16_sdwa v0, v76, s2 dst_sel:DWORD dst_unused:UNUSED_PAD src0_sel:BYTE_0 src1_sel:DWORD
	v_pk_add_f32 v[10:11], v[10:11], v[14:15]
	v_pk_add_f32 v[14:15], v[12:13], v[6:7] op_sel:[0,1] op_sel_hi:[1,0] neg_lo:[0,1] neg_hi:[0,1]
	v_pk_add_f32 v[6:7], v[12:13], v[6:7] op_sel:[0,1] op_sel_hi:[1,0]
	v_lshrrev_b16_e32 v49, 10, v0
	v_pk_add_f32 v[6:7], v[6:7], v[2:3] op_sel:[0,1] op_sel_hi:[1,0] neg_lo:[0,1] neg_hi:[0,1]
	v_pk_add_f32 v[2:3], v[14:15], v[2:3] op_sel:[0,1] op_sel_hi:[1,0]
	v_mul_lo_u16_e32 v0, 5, v49
	v_mul_lo_u16_sdwa v8, v68, s2 dst_sel:DWORD dst_unused:UNUSED_PAD src0_sel:BYTE_0 src1_sel:DWORD
	v_mov_b32_e32 v12, v2
	v_mov_b32_e32 v13, v7
	;; [unrolled: 1-line block ×3, first 2 shown]
	v_sub_u16_e32 v69, v76, v0
	v_lshrrev_b16_e32 v77, 10, v8
	v_pk_fma_f32 v[12:13], v[10:11], s[14:15], v[12:13] op_sel_hi:[1,0,1]
	v_pk_fma_f32 v[2:3], v[10:11], s[14:15], v[6:7] op_sel_hi:[1,0,1]
	v_lshlrev_b32_sdwa v0, v44, v69 dst_sel:DWORD dst_unused:UNUSED_PAD src0_sel:DWORD src1_sel:BYTE_0
	v_mul_lo_u16_e32 v8, 5, v77
	ds_write2_b64 v125, v[12:13], v[2:3] offset0:2 offset1:3
	s_waitcnt lgkmcnt(0)
	s_barrier
	global_load_dwordx4 v[4:7], v0, s[10:11]
	v_sub_u16_e32 v78, v68, v8
	v_lshlrev_b32_sdwa v8, v44, v78 dst_sel:DWORD dst_unused:UNUSED_PAD src0_sel:DWORD src1_sel:BYTE_0
	global_load_dwordx4 v[8:11], v8, s[10:11]
	v_mul_lo_u16_e32 v0, 5, v45
	v_sub_u16_e32 v73, v72, v0
	v_lshlrev_b32_sdwa v0, v44, v73 dst_sel:DWORD dst_unused:UNUSED_PAD src0_sel:DWORD src1_sel:BYTE_0
	global_load_dwordx4 v[0:3], v0, s[10:11]
	v_mul_lo_u16_sdwa v12, v64, s2 dst_sel:DWORD dst_unused:UNUSED_PAD src0_sel:BYTE_0 src1_sel:DWORD
	v_lshrrev_b16_e32 v79, 10, v12
	v_mul_lo_u16_sdwa v16, v106, s2 dst_sel:DWORD dst_unused:UNUSED_PAD src0_sel:BYTE_0 src1_sel:DWORD
	v_mul_lo_u16_e32 v12, 5, v79
	v_lshrrev_b16_e32 v74, 10, v16
	v_sub_u16_e32 v122, v64, v12
	v_mul_lo_u16_e32 v16, 5, v74
	v_lshlrev_b32_sdwa v12, v44, v122 dst_sel:DWORD dst_unused:UNUSED_PAD src0_sel:DWORD src1_sel:BYTE_0
	global_load_dwordx4 v[12:15], v12, s[10:11]
	v_sub_u16_e32 v75, v106, v16
	v_lshlrev_b16_e32 v16, 1, v75
	v_and_b32_e32 v16, 0xfe, v16
	v_lshlrev_b32_e32 v16, 3, v16
	global_load_dwordx4 v[16:19], v16, s[10:11]
	ds_read2_b64 v[20:23], v117 offset0:216 offset1:243
	s_mov_b32 s2, 0x3f5db3d7
	s_waitcnt vmcnt(4) lgkmcnt(0)
	v_pk_mul_f32 v[24:25], v[22:23], v[4:5] op_sel:[0,1]
	s_nop 0
	v_pk_fma_f32 v[30:31], v[22:23], v[4:5], v[24:25] op_sel:[0,0,1] op_sel_hi:[1,1,0] neg_lo:[0,0,1] neg_hi:[0,0,1]
	v_pk_fma_f32 v[32:33], v[22:23], v[4:5], v[24:25] op_sel:[0,0,1] op_sel_hi:[1,0,0]
	ds_read2_b64 v[22:25], v119 offset0:68 offset1:95
	s_waitcnt vmcnt(3)
	v_mov_b32_e32 v118, v11
	v_mov_b32_e32 v130, v7
	;; [unrolled: 1-line block ×3, first 2 shown]
	s_waitcnt vmcnt(2)
	v_pk_mul_f32 v[26:27], v[20:21], v[0:1] op_sel:[0,1]
	v_mov_b32_e32 v120, v3
	v_pk_fma_f32 v[34:35], v[20:21], v[0:1], v[26:27] op_sel:[0,0,1] op_sel_hi:[1,1,0] neg_lo:[0,0,1] neg_hi:[0,0,1]
	v_pk_fma_f32 v[36:37], v[20:21], v[0:1], v[26:27] op_sel:[0,0,1] op_sel_hi:[1,0,0]
	s_waitcnt lgkmcnt(0)
	v_pk_mul_f32 v[20:21], v[24:25], v[120:121] op_sel_hi:[1,0]
	v_mov_b32_e32 v35, v37
	v_pk_fma_f32 v[38:39], v[24:25], v[2:3], v[20:21] op_sel:[0,0,1] op_sel_hi:[1,1,0] neg_lo:[0,0,1] neg_hi:[0,0,1]
	v_pk_fma_f32 v[40:41], v[24:25], v[2:3], v[20:21] op_sel:[0,0,1] op_sel_hi:[1,0,0]
	ds_read2_b64 v[24:27], v117 offset0:162 offset1:189
	v_pk_mul_f32 v[20:21], v[22:23], v[118:119] op_sel_hi:[1,0]
	s_waitcnt vmcnt(1)
	v_mov_b32_e32 v114, v15
	v_pk_fma_f32 v[42:43], v[22:23], v[10:11], v[20:21] op_sel:[0,0,1] op_sel_hi:[1,1,0] neg_lo:[0,0,1] neg_hi:[0,0,1]
	v_pk_fma_f32 v[46:47], v[22:23], v[10:11], v[20:21] op_sel:[0,0,1] op_sel_hi:[1,0,0]
	s_waitcnt lgkmcnt(0)
	v_pk_mul_f32 v[20:21], v[26:27], v[8:9] op_sel:[0,1]
	s_waitcnt vmcnt(0)
	v_mov_b32_e32 v116, v19
	v_pk_fma_f32 v[50:51], v[26:27], v[8:9], v[20:21] op_sel:[0,0,1] op_sel_hi:[1,1,0] neg_lo:[0,0,1] neg_hi:[0,0,1]
	v_pk_fma_f32 v[52:53], v[26:27], v[8:9], v[20:21] op_sel:[0,0,1] op_sel_hi:[1,0,0]
	ds_read2_b64 v[20:23], v119 offset0:14 offset1:41
	v_pk_mul_f32 v[26:27], v[24:25], v[12:13] op_sel:[0,1]
	v_mad_legacy_u16 v3, v74, 15, v75
	v_pk_fma_f32 v[54:55], v[24:25], v[12:13], v[26:27] op_sel:[0,0,1] op_sel_hi:[1,1,0] neg_lo:[0,0,1] neg_hi:[0,0,1]
	v_pk_fma_f32 v[56:57], v[24:25], v[12:13], v[26:27] op_sel:[0,0,1] op_sel_hi:[1,0,0]
	s_waitcnt lgkmcnt(0)
	v_pk_mul_f32 v[24:25], v[22:23], v[114:115] op_sel_hi:[1,0]
	v_pk_mul_f32 v[26:27], v[20:21], v[116:117] op_sel_hi:[1,0]
	v_pk_fma_f32 v[58:59], v[22:23], v[14:15], v[24:25] op_sel:[0,0,1] op_sel_hi:[1,1,0] neg_lo:[0,0,1] neg_hi:[0,0,1]
	v_pk_fma_f32 v[60:61], v[22:23], v[14:15], v[24:25] op_sel:[0,0,1] op_sel_hi:[1,0,0]
	ds_read2_b64 v[22:25], v117 offset0:108 offset1:135
	v_pk_fma_f32 v[62:63], v[20:21], v[18:19], v[26:27] op_sel:[0,0,1] op_sel_hi:[1,1,0] neg_lo:[0,0,1] neg_hi:[0,0,1]
	v_pk_fma_f32 v[20:21], v[20:21], v[18:19], v[26:27] op_sel:[0,0,1] op_sel_hi:[1,0,0]
	ds_read2_b64 v[26:29], v117 offset1:27
	v_mov_b32_e32 v63, v21
	s_waitcnt lgkmcnt(1)
	v_pk_mul_f32 v[66:67], v[24:25], v[16:17] op_sel:[0,1]
	v_and_b32_e32 v3, 0xff, v3
	v_pk_fma_f32 v[70:71], v[24:25], v[16:17], v[66:67] op_sel:[0,0,1] op_sel_hi:[1,1,0] neg_lo:[0,0,1] neg_hi:[0,0,1]
	v_pk_fma_f32 v[24:25], v[24:25], v[16:17], v[66:67] op_sel:[0,0,1] op_sel_hi:[1,0,0]
	v_lshl_add_u32 v3, v3, 3, v48
	v_mov_b32_e32 v71, v25
	s_waitcnt lgkmcnt(0)
	v_pk_add_f32 v[20:21], v[26:27], v[70:71]
	v_pk_add_f32 v[24:25], v[70:71], v[62:63]
	;; [unrolled: 1-line block ×3, first 2 shown]
	v_pk_add_f32 v[62:63], v[70:71], v[62:63] neg_lo:[0,1] neg_hi:[0,1]
	v_pk_fma_f32 v[24:25], v[24:25], 0.5, v[26:27] op_sel_hi:[1,0,1] neg_lo:[1,0,0] neg_hi:[1,0,0]
	v_pk_mul_f32 v[26:27], v[62:63], s[2:3] op_sel_hi:[1,0]
	v_mov_b32_e32 v55, v57
	v_pk_add_f32 v[62:63], v[24:25], v[26:27] op_sel:[0,1] op_sel_hi:[1,0]
	v_pk_add_f32 v[66:67], v[24:25], v[26:27] op_sel:[0,1] op_sel_hi:[1,0] neg_lo:[0,1] neg_hi:[0,1]
	v_mov_b32_e32 v74, v62
	v_mov_b32_e32 v75, v67
	;; [unrolled: 1-line block ×3, first 2 shown]
	ds_read_b64 v[70:71], v117 offset:3024
	ds_read2_b64 v[24:27], v117 offset0:54 offset1:81
	s_waitcnt lgkmcnt(0)
	s_barrier
	ds_write2_b64 v3, v[20:21], v[74:75] offset1:5
	v_pk_add_f32 v[20:21], v[54:55], v[58:59]
	v_mul_lo_u16_e32 v11, 15, v79
	v_pk_fma_f32 v[20:21], v[20:21], 0.5, v[28:29] op_sel_hi:[1,0,1] neg_lo:[1,0,0] neg_hi:[1,0,0]
	v_pk_add_f32 v[28:29], v[28:29], v[54:55]
	v_pk_add_f32 v[54:55], v[54:55], v[58:59] neg_lo:[0,1] neg_hi:[0,1]
	v_add_u32_sdwa v11, v11, v122 dst_sel:DWORD dst_unused:UNUSED_PAD src0_sel:BYTE_0 src1_sel:BYTE_0
	v_pk_mul_f32 v[54:55], v[54:55], s[2:3] op_sel_hi:[1,0]
	v_mov_b32_e32 v67, v63
	v_pk_add_f32 v[56:57], v[20:21], v[54:55] op_sel:[0,1] op_sel_hi:[1,0]
	v_pk_add_f32 v[20:21], v[20:21], v[54:55] op_sel:[0,1] op_sel_hi:[1,0] neg_lo:[0,1] neg_hi:[0,1]
	v_lshl_add_u32 v11, v11, 3, v48
	v_mov_b32_e32 v55, v21
	v_mov_b32_e32 v51, v53
	;; [unrolled: 1-line block ×3, first 2 shown]
	ds_write_b64 v3, v[66:67] offset:80
	v_pk_add_f32 v[28:29], v[28:29], v[58:59]
	v_mov_b32_e32 v54, v56
	v_mov_b32_e32 v43, v47
	ds_write_b64 v11, v[20:21] offset:80
	v_pk_add_f32 v[20:21], v[24:25], v[50:51]
	ds_write2_b64 v11, v[28:29], v[54:55] offset1:5
	v_pk_add_f32 v[20:21], v[20:21], v[42:43]
	v_pk_add_f32 v[28:29], v[50:51], v[42:43]
	v_pk_add_f32 v[42:43], v[50:51], v[42:43] neg_lo:[0,1] neg_hi:[0,1]
	v_pk_fma_f32 v[24:25], v[28:29], 0.5, v[24:25] op_sel_hi:[1,0,1] neg_lo:[1,0,0] neg_hi:[1,0,0]
	v_pk_mul_f32 v[28:29], v[42:43], s[2:3] op_sel_hi:[1,0]
	v_mul_u32_u24_e32 v15, 15, v77
	v_pk_add_f32 v[42:43], v[24:25], v[28:29] op_sel:[0,1] op_sel_hi:[1,0]
	v_pk_add_f32 v[24:25], v[24:25], v[28:29] op_sel:[0,1] op_sel_hi:[1,0] neg_lo:[0,1] neg_hi:[0,1]
	v_add_u32_sdwa v15, v15, v78 dst_sel:DWORD dst_unused:UNUSED_PAD src0_sel:DWORD src1_sel:BYTE_0
	v_lshl_add_u32 v15, v15, 3, v48
	v_mov_b32_e32 v28, v42
	v_mov_b32_e32 v29, v25
	;; [unrolled: 1-line block ×3, first 2 shown]
	ds_write2_b64 v15, v[20:21], v[28:29] offset1:5
	v_pk_add_f32 v[20:21], v[34:35], v[38:39]
	v_mov_b32_e32 v25, v43
	v_pk_fma_f32 v[20:21], v[20:21], 0.5, v[26:27] op_sel_hi:[1,0,1] neg_lo:[1,0,0] neg_hi:[1,0,0]
	v_pk_add_f32 v[26:27], v[26:27], v[34:35]
	ds_write_b64 v15, v[24:25] offset:80
	v_pk_add_f32 v[24:25], v[26:27], v[38:39]
	v_pk_add_f32 v[26:27], v[34:35], v[38:39] neg_lo:[0,1] neg_hi:[0,1]
	v_mul_u32_u24_e32 v19, 15, v45
	v_pk_mul_f32 v[26:27], v[26:27], s[2:3] op_sel_hi:[1,0]
	v_add_u32_sdwa v19, v19, v73 dst_sel:DWORD dst_unused:UNUSED_PAD src0_sel:DWORD src1_sel:BYTE_0
	v_pk_add_f32 v[28:29], v[20:21], v[26:27] op_sel:[0,1] op_sel_hi:[1,0]
	v_pk_add_f32 v[20:21], v[20:21], v[26:27] op_sel:[0,1] op_sel_hi:[1,0] neg_lo:[0,1] neg_hi:[0,1]
	v_lshl_add_u32 v19, v19, 3, v48
	v_mov_b32_e32 v26, v28
	v_mov_b32_e32 v27, v21
	ds_write2_b64 v19, v[24:25], v[26:27] offset1:5
	v_pk_mul_f32 v[24:25], v[70:71], v[130:131] op_sel_hi:[1,0]
	v_mov_b32_e32 v21, v29
	v_pk_fma_f32 v[26:27], v[70:71], v[6:7], v[24:25] op_sel:[0,0,1] op_sel_hi:[1,1,0] neg_lo:[0,0,1] neg_hi:[0,0,1]
	v_pk_fma_f32 v[24:25], v[70:71], v[6:7], v[24:25] op_sel:[0,0,1] op_sel_hi:[1,0,0]
	ds_write_b64 v19, v[20:21] offset:80
	v_mov_b32_e32 v27, v25
	v_pk_add_f32 v[24:25], v[30:31], v[26:27]
	v_mul_u32_u24_e32 v7, 15, v49
	v_pk_fma_f32 v[24:25], v[24:25], 0.5, v[22:23] op_sel_hi:[1,0,1] neg_lo:[1,0,0] neg_hi:[1,0,0]
	v_pk_add_f32 v[22:23], v[22:23], v[30:31]
	v_add_u32_sdwa v7, v7, v69 dst_sel:DWORD dst_unused:UNUSED_PAD src0_sel:DWORD src1_sel:BYTE_0
	v_pk_add_f32 v[20:21], v[22:23], v[26:27]
	v_pk_add_f32 v[22:23], v[30:31], v[26:27] neg_lo:[0,1] neg_hi:[0,1]
	v_lshl_add_u32 v7, v7, 3, v48
	v_pk_mul_f32 v[22:23], v[22:23], s[2:3] op_sel_hi:[1,0]
	s_movk_i32 s3, 0x89
	v_pk_add_f32 v[26:27], v[24:25], v[22:23] op_sel:[0,1] op_sel_hi:[1,0]
	v_pk_add_f32 v[22:23], v[24:25], v[22:23] op_sel:[0,1] op_sel_hi:[1,0] neg_lo:[0,1] neg_hi:[0,1]
	v_mov_b32_e32 v24, v26
	v_mov_b32_e32 v25, v23
	ds_write2_b64 v7, v[20:21], v[24:25] offset1:5
	v_mul_lo_u16_sdwa v20, v72, s3 dst_sel:DWORD dst_unused:UNUSED_PAD src0_sel:BYTE_0 src1_sel:DWORD
	v_lshrrev_b16_e32 v45, 11, v20
	v_mul_lo_u16_sdwa v20, v76, s3 dst_sel:DWORD dst_unused:UNUSED_PAD src0_sel:BYTE_0 src1_sel:DWORD
	v_lshrrev_b16_e32 v49, 11, v20
	v_mul_lo_u16_e32 v20, 15, v49
	v_sub_u16_e32 v69, v76, v20
	v_mov_b32_e32 v23, v27
	v_lshlrev_b32_sdwa v20, v44, v69 dst_sel:DWORD dst_unused:UNUSED_PAD src0_sel:DWORD src1_sel:BYTE_0
	ds_write_b64 v7, v[22:23] offset:80
	s_waitcnt lgkmcnt(0)
	s_barrier
	global_load_dwordx4 v[20:23], v20, s[10:11] offset:80
	v_mul_lo_u16_e32 v24, 15, v45
	v_sub_u16_e32 v73, v72, v24
	v_lshlrev_b32_sdwa v24, v44, v73 dst_sel:DWORD dst_unused:UNUSED_PAD src0_sel:DWORD src1_sel:BYTE_0
	global_load_dwordx4 v[24:27], v24, s[10:11] offset:80
	v_mul_lo_u16_sdwa v28, v68, s3 dst_sel:DWORD dst_unused:UNUSED_PAD src0_sel:BYTE_0 src1_sel:DWORD
	v_lshrrev_b16_e32 v77, 11, v28
	v_mul_lo_u16_e32 v28, 15, v77
	v_sub_u16_e32 v129, v68, v28
	v_lshlrev_b32_sdwa v28, v44, v129 dst_sel:DWORD dst_unused:UNUSED_PAD src0_sel:DWORD src1_sel:BYTE_0
	global_load_dwordx4 v[28:31], v28, s[10:11] offset:80
	v_mul_lo_u16_sdwa v32, v64, s3 dst_sel:DWORD dst_unused:UNUSED_PAD src0_sel:BYTE_0 src1_sel:DWORD
	v_lshrrev_b16_e32 v131, 11, v32
	v_mul_lo_u16_e32 v32, 15, v131
	v_sub_u16_e32 v150, v64, v32
	v_lshlrev_b32_sdwa v32, v44, v150 dst_sel:DWORD dst_unused:UNUSED_PAD src0_sel:DWORD src1_sel:BYTE_0
	global_load_dwordx4 v[32:35], v32, s[10:11] offset:80
	v_lshl_add_u64 v[36:37], v[106:107], 0, -15
	v_cndmask_b32_e64 v47, v37, 0, vcc
	v_cndmask_b32_e32 v46, v36, v106, vcc
	v_lshl_add_u64 v[36:37], v[46:47], 4, s[10:11]
	global_load_dwordx4 v[36:39], v[36:37], off offset:80
	ds_read2_b64 v[40:43], v117 offset0:216 offset1:243
	v_cmp_lt_u16_e32 vcc, 14, v106
	v_lshlrev_b32_e32 v68, 4, v68
	s_waitcnt vmcnt(4) lgkmcnt(0)
	v_pk_mul_f32 v[50:51], v[42:43], v[20:21] op_sel:[0,1]
	s_nop 0
	v_pk_fma_f32 v[58:59], v[42:43], v[20:21], v[50:51] op_sel:[0,0,1] op_sel_hi:[1,1,0] neg_lo:[0,0,1] neg_hi:[0,0,1]
	v_pk_fma_f32 v[60:61], v[42:43], v[20:21], v[50:51] op_sel:[0,0,1] op_sel_hi:[1,0,0]
	ds_read2_b64 v[50:53], v119 offset0:68 offset1:95
	s_waitcnt vmcnt(3)
	v_pk_mul_f32 v[42:43], v[40:41], v[24:25] op_sel:[0,1]
	v_mov_b32_e32 v128, v27
	v_pk_fma_f32 v[62:63], v[40:41], v[24:25], v[42:43] op_sel:[0,0,1] op_sel_hi:[1,1,0] neg_lo:[0,0,1] neg_hi:[0,0,1]
	v_pk_fma_f32 v[66:67], v[40:41], v[24:25], v[42:43] op_sel:[0,0,1] op_sel_hi:[1,0,0]
	s_waitcnt lgkmcnt(0)
	v_pk_mul_f32 v[40:41], v[52:53], v[128:129] op_sel_hi:[1,0]
	v_mov_b32_e32 v63, v67
	v_pk_fma_f32 v[70:71], v[52:53], v[26:27], v[40:41] op_sel:[0,0,1] op_sel_hi:[1,1,0] neg_lo:[0,0,1] neg_hi:[0,0,1]
	v_pk_fma_f32 v[74:75], v[52:53], v[26:27], v[40:41] op_sel:[0,0,1] op_sel_hi:[1,0,0]
	ds_read2_b64 v[40:43], v117 offset0:162 offset1:189
	s_waitcnt vmcnt(2)
	v_mov_b32_e32 v126, v31
	v_pk_mul_f32 v[52:53], v[50:51], v[126:127] op_sel_hi:[1,0]
	v_cndmask_b32_e64 v27, 0, 45, vcc
	v_pk_fma_f32 v[78:79], v[50:51], v[30:31], v[52:53] op_sel:[0,0,1] op_sel_hi:[1,1,0] neg_lo:[0,0,1] neg_hi:[0,0,1]
	v_pk_fma_f32 v[132:133], v[50:51], v[30:31], v[52:53] op_sel:[0,0,1] op_sel_hi:[1,0,0]
	s_waitcnt lgkmcnt(0)
	v_pk_mul_f32 v[50:51], v[42:43], v[28:29] op_sel:[0,1]
	s_waitcnt vmcnt(1)
	v_mov_b32_e32 v124, v35
	v_pk_fma_f32 v[134:135], v[42:43], v[28:29], v[50:51] op_sel:[0,0,1] op_sel_hi:[1,1,0] neg_lo:[0,0,1] neg_hi:[0,0,1]
	v_pk_fma_f32 v[136:137], v[42:43], v[28:29], v[50:51] op_sel:[0,0,1] op_sel_hi:[1,0,0]
	ds_read2_b64 v[50:53], v119 offset0:14 offset1:41
	v_pk_mul_f32 v[42:43], v[40:41], v[32:33] op_sel:[0,1]
	s_waitcnt vmcnt(0)
	v_mov_b32_e32 v122, v39
	v_pk_fma_f32 v[138:139], v[40:41], v[32:33], v[42:43] op_sel:[0,0,1] op_sel_hi:[1,1,0] neg_lo:[0,0,1] neg_hi:[0,0,1]
	v_pk_fma_f32 v[140:141], v[40:41], v[32:33], v[42:43] op_sel:[0,0,1] op_sel_hi:[1,0,0]
	s_waitcnt lgkmcnt(0)
	v_pk_mul_f32 v[40:41], v[52:53], v[124:125] op_sel_hi:[1,0]
	v_add_u32_e32 v27, v46, v27
	v_pk_fma_f32 v[142:143], v[52:53], v[34:35], v[40:41] op_sel:[0,0,1] op_sel_hi:[1,1,0] neg_lo:[0,0,1] neg_hi:[0,0,1]
	v_pk_fma_f32 v[144:145], v[52:53], v[34:35], v[40:41] op_sel:[0,0,1] op_sel_hi:[1,0,0]
	ds_read2_b64 v[40:43], v117 offset0:108 offset1:135
	v_pk_mul_f32 v[52:53], v[50:51], v[122:123] op_sel_hi:[1,0]
	v_lshl_add_u32 v27, v27, 3, v48
	v_pk_fma_f32 v[54:55], v[50:51], v[38:39], v[52:53] op_sel:[0,0,1] op_sel_hi:[1,1,0] neg_lo:[0,0,1] neg_hi:[0,0,1]
	v_pk_fma_f32 v[56:57], v[50:51], v[38:39], v[52:53] op_sel:[0,0,1] op_sel_hi:[1,0,0]
	ds_read2_b64 v[50:53], v117 offset1:27
	s_waitcnt lgkmcnt(1)
	v_pk_mul_f32 v[46:47], v[42:43], v[36:37] op_sel:[0,1]
	v_mov_b32_e32 v55, v57
	v_pk_fma_f32 v[146:147], v[42:43], v[36:37], v[46:47] op_sel:[0,0,1] op_sel_hi:[1,1,0] neg_lo:[0,0,1] neg_hi:[0,0,1]
	v_pk_fma_f32 v[42:43], v[42:43], v[36:37], v[46:47] op_sel:[0,0,1] op_sel_hi:[1,0,0]
	v_mov_b32_e32 v139, v141
	v_mov_b32_e32 v147, v43
	s_waitcnt lgkmcnt(0)
	v_pk_add_f32 v[42:43], v[50:51], v[146:147]
	v_pk_add_f32 v[46:47], v[146:147], v[54:55]
	;; [unrolled: 1-line block ×3, first 2 shown]
	v_pk_add_f32 v[54:55], v[146:147], v[54:55] neg_lo:[0,1] neg_hi:[0,1]
	v_pk_fma_f32 v[46:47], v[46:47], 0.5, v[50:51] op_sel_hi:[1,0,1] neg_lo:[1,0,0] neg_hi:[1,0,0]
	v_pk_mul_f32 v[50:51], v[54:55], s[2:3] op_sel_hi:[1,0]
	v_mov_b32_e32 v143, v145
	v_pk_add_f32 v[146:147], v[46:47], v[50:51] op_sel:[0,1] op_sel_hi:[1,0]
	v_pk_add_f32 v[46:47], v[46:47], v[50:51] op_sel:[0,1] op_sel_hi:[1,0] neg_lo:[0,1] neg_hi:[0,1]
	v_mov_b32_e32 v148, v146
	v_mov_b32_e32 v149, v47
	ds_read_b64 v[50:51], v117 offset:3024
	ds_read2_b64 v[54:57], v117 offset0:54 offset1:81
	s_waitcnt lgkmcnt(0)
	s_barrier
	ds_write2_b64 v27, v[42:43], v[148:149] offset1:15
	v_pk_add_f32 v[42:43], v[138:139], v[142:143]
	v_mov_b32_e32 v47, v147
	v_pk_fma_f32 v[42:43], v[42:43], 0.5, v[52:53] op_sel_hi:[1,0,1] neg_lo:[1,0,0] neg_hi:[1,0,0]
	v_pk_add_f32 v[52:53], v[52:53], v[138:139]
	ds_write_b64 v27, v[46:47] offset:240
	v_pk_add_f32 v[46:47], v[52:53], v[142:143]
	v_pk_add_f32 v[52:53], v[138:139], v[142:143] neg_lo:[0,1] neg_hi:[0,1]
	v_mul_u32_u24_e32 v31, 45, v131
	v_pk_mul_f32 v[52:53], v[52:53], s[2:3] op_sel_hi:[1,0]
	v_add_u32_sdwa v31, v31, v150 dst_sel:DWORD dst_unused:UNUSED_PAD src0_sel:DWORD src1_sel:BYTE_0
	v_pk_add_f32 v[138:139], v[42:43], v[52:53] op_sel:[0,1] op_sel_hi:[1,0]
	v_pk_add_f32 v[42:43], v[42:43], v[52:53] op_sel:[0,1] op_sel_hi:[1,0] neg_lo:[0,1] neg_hi:[0,1]
	v_lshl_add_u32 v31, v31, 3, v48
	v_mov_b32_e32 v52, v138
	v_mov_b32_e32 v53, v43
	;; [unrolled: 1-line block ×4, first 2 shown]
	ds_write2_b64 v31, v[46:47], v[52:53] offset1:15
	v_pk_add_f32 v[46:47], v[134:135], v[78:79]
	v_pk_add_f32 v[52:53], v[134:135], v[78:79] neg_lo:[0,1] neg_hi:[0,1]
	v_mov_b32_e32 v43, v139
	v_pk_fma_f32 v[46:47], v[46:47], 0.5, v[54:55] op_sel_hi:[1,0,1] neg_lo:[1,0,0] neg_hi:[1,0,0]
	v_pk_mul_f32 v[52:53], v[52:53], s[2:3] op_sel_hi:[1,0]
	v_mul_u32_u24_e32 v35, 45, v77
	ds_write_b64 v31, v[42:43] offset:240
	v_pk_add_f32 v[42:43], v[54:55], v[134:135]
	v_pk_add_f32 v[54:55], v[46:47], v[52:53] op_sel:[0,1] op_sel_hi:[1,0]
	v_pk_add_f32 v[46:47], v[46:47], v[52:53] op_sel:[0,1] op_sel_hi:[1,0] neg_lo:[0,1] neg_hi:[0,1]
	v_add_u32_sdwa v35, v35, v129 dst_sel:DWORD dst_unused:UNUSED_PAD src0_sel:DWORD src1_sel:BYTE_0
	v_pk_add_f32 v[42:43], v[42:43], v[78:79]
	v_lshl_add_u32 v35, v35, 3, v48
	v_mov_b32_e32 v52, v54
	v_mov_b32_e32 v53, v47
	ds_write2_b64 v35, v[42:43], v[52:53] offset1:15
	v_mov_b32_e32 v71, v75
	v_pk_add_f32 v[52:53], v[56:57], v[62:63]
	v_mov_b32_e32 v47, v55
	v_pk_add_f32 v[42:43], v[62:63], v[70:71]
	ds_write_b64 v35, v[46:47] offset:240
	v_pk_add_f32 v[46:47], v[52:53], v[70:71]
	v_pk_add_f32 v[52:53], v[62:63], v[70:71] neg_lo:[0,1] neg_hi:[0,1]
	v_pk_fma_f32 v[42:43], v[42:43], 0.5, v[56:57] op_sel_hi:[1,0,1] neg_lo:[1,0,0] neg_hi:[1,0,0]
	v_pk_mul_f32 v[52:53], v[52:53], s[2:3] op_sel_hi:[1,0]
	v_mul_u32_u24_e32 v39, 45, v45
	v_pk_add_f32 v[54:55], v[42:43], v[52:53] op_sel:[0,1] op_sel_hi:[1,0]
	v_pk_add_f32 v[42:43], v[42:43], v[52:53] op_sel:[0,1] op_sel_hi:[1,0] neg_lo:[0,1] neg_hi:[0,1]
	v_add_u32_sdwa v39, v39, v73 dst_sel:DWORD dst_unused:UNUSED_PAD src0_sel:DWORD src1_sel:BYTE_0
	v_lshl_add_u32 v39, v39, 3, v48
	v_mov_b32_e32 v52, v54
	v_mov_b32_e32 v53, v43
	;; [unrolled: 1-line block ×3, first 2 shown]
	ds_write2_b64 v39, v[46:47], v[52:53] offset1:15
	v_pk_mul_f32 v[46:47], v[50:51], v[142:143] op_sel_hi:[1,0]
	v_mov_b32_e32 v59, v61
	v_pk_fma_f32 v[52:53], v[50:51], v[22:23], v[46:47] op_sel:[0,0,1] op_sel_hi:[1,1,0] neg_lo:[0,0,1] neg_hi:[0,0,1]
	v_pk_fma_f32 v[46:47], v[50:51], v[22:23], v[46:47] op_sel:[0,0,1] op_sel_hi:[1,0,0]
	v_mov_b32_e32 v43, v55
	v_mov_b32_e32 v53, v47
	v_pk_add_f32 v[46:47], v[58:59], v[52:53]
	ds_write_b64 v39, v[42:43] offset:240
	v_pk_add_f32 v[42:43], v[58:59], v[52:53] neg_lo:[0,1] neg_hi:[0,1]
	v_pk_fma_f32 v[46:47], v[46:47], 0.5, v[40:41] op_sel_hi:[1,0,1] neg_lo:[1,0,0] neg_hi:[1,0,0]
	v_pk_mul_f32 v[42:43], v[42:43], s[2:3] op_sel_hi:[1,0]
	v_mul_u32_u24_e32 v23, 45, v49
	v_pk_add_f32 v[40:41], v[40:41], v[58:59]
	v_pk_add_f32 v[50:51], v[46:47], v[42:43] op_sel:[0,1] op_sel_hi:[1,0]
	v_pk_add_f32 v[42:43], v[46:47], v[42:43] op_sel:[0,1] op_sel_hi:[1,0] neg_lo:[0,1] neg_hi:[0,1]
	v_add_u32_sdwa v23, v23, v69 dst_sel:DWORD dst_unused:UNUSED_PAD src0_sel:DWORD src1_sel:BYTE_0
	v_pk_add_f32 v[40:41], v[40:41], v[52:53]
	v_lshl_add_u32 v23, v23, 3, v48
	v_mov_b32_e32 v46, v50
	v_mov_b32_e32 v47, v43
	s_movk_i32 s3, 0x6d
	ds_write2_b64 v23, v[40:41], v[46:47] offset1:15
	v_mul_lo_u16_sdwa v40, v72, s3 dst_sel:DWORD dst_unused:UNUSED_PAD src0_sel:BYTE_0 src1_sel:DWORD
	v_sub_u16_sdwa v41, v72, v40 dst_sel:DWORD dst_unused:UNUSED_PAD src0_sel:DWORD src1_sel:BYTE_1
	v_lshrrev_b16_e32 v41, 1, v41
	v_and_b32_e32 v41, 0x7f, v41
	v_mov_b32_e32 v43, v51
	v_add_u16_sdwa v40, v41, v40 dst_sel:DWORD dst_unused:UNUSED_PAD src0_sel:DWORD src1_sel:BYTE_1
	v_mul_lo_u16_sdwa v41, v76, s3 dst_sel:DWORD dst_unused:UNUSED_PAD src0_sel:BYTE_0 src1_sel:DWORD
	ds_write_b64 v23, v[42:43] offset:240
	v_sub_u16_sdwa v42, v76, v41 dst_sel:DWORD dst_unused:UNUSED_PAD src0_sel:DWORD src1_sel:BYTE_1
	v_lshrrev_b16_e32 v42, 1, v42
	v_and_b32_e32 v42, 0x7f, v42
	v_add_u16_sdwa v41, v42, v41 dst_sel:DWORD dst_unused:UNUSED_PAD src0_sel:DWORD src1_sel:BYTE_1
	v_lshrrev_b16_e32 v49, 5, v40
	v_lshrrev_b16_e32 v40, 5, v41
	v_mul_lo_u16_e32 v40, 45, v40
	v_sub_u16_e32 v40, v76, v40
	v_mul_lo_u16_e32 v45, 45, v49
	v_and_b32_e32 v69, 0xff, v40
	v_sub_u16_e32 v73, v72, v45
	v_lshlrev_b32_e32 v40, 4, v69
	v_lshlrev_b32_sdwa v44, v44, v73 dst_sel:DWORD dst_unused:UNUSED_PAD src0_sel:DWORD src1_sel:BYTE_0
	s_waitcnt lgkmcnt(0)
	s_barrier
	global_load_dwordx4 v[40:43], v40, s[10:11] offset:320
	v_lshlrev_b32_e32 v77, 4, v106
	global_load_dwordx4 v[44:47], v44, s[10:11] offset:320
	v_lshl_add_u64 v[50:51], v[106:107], 0, s[20:21]
	global_load_dwordx4 v[52:55], v77, s[10:11] offset:464
	v_cmp_gt_u16_e32 vcc, 18, v106
	v_mul_u32_u24_e32 v49, 0x87, v49
	v_add_u32_sdwa v49, v49, v73 dst_sel:DWORD dst_unused:UNUSED_PAD src0_sel:DWORD src1_sel:BYTE_0
	v_cndmask_b32_e32 v51, v51, v65, vcc
	v_cndmask_b32_e32 v50, v50, v64, vcc
	v_lshl_add_u64 v[66:67], v[50:51], 4, s[10:11]
	global_load_dwordx4 v[56:59], v[66:67], off offset:320
	global_load_dwordx4 v[60:63], v77, s[10:11] offset:320
	ds_read2_b64 v[132:135], v117 offset0:216 offset1:243
	ds_read2_b64 v[144:147], v119 offset0:68 offset1:95
	v_cmp_lt_u16_e32 vcc, 17, v106
	v_lshlrev_b32_e32 v64, 4, v64
	v_lshlrev_b32_e32 v72, 4, v72
	;; [unrolled: 1-line block ×3, first 2 shown]
	s_waitcnt vmcnt(4) lgkmcnt(1)
	v_pk_mul_f32 v[66:67], v[134:135], v[40:41] op_sel:[0,1]
	s_nop 0
	v_pk_fma_f32 v[70:71], v[134:135], v[40:41], v[66:67] op_sel:[0,0,1] op_sel_hi:[1,1,0] neg_lo:[0,0,1] neg_hi:[0,0,1]
	s_waitcnt vmcnt(3)
	v_pk_mul_f32 v[74:75], v[132:133], v[44:45] op_sel:[0,1]
	v_mov_b32_e32 v138, v47
	v_pk_fma_f32 v[78:79], v[132:133], v[44:45], v[74:75] op_sel:[0,0,1] op_sel_hi:[1,1,0] neg_lo:[0,0,1] neg_hi:[0,0,1]
	v_pk_fma_f32 v[74:75], v[132:133], v[44:45], v[74:75] op_sel:[0,0,1] op_sel_hi:[1,0,0]
	s_waitcnt lgkmcnt(0)
	v_pk_mul_f32 v[132:133], v[146:147], v[138:139] op_sel_hi:[1,0]
	v_pk_fma_f32 v[66:67], v[134:135], v[40:41], v[66:67] op_sel:[0,0,1] op_sel_hi:[1,0,0]
	v_pk_fma_f32 v[140:141], v[146:147], v[46:47], v[132:133] op_sel:[0,0,1] op_sel_hi:[1,1,0] neg_lo:[0,0,1] neg_hi:[0,0,1]
	v_pk_fma_f32 v[132:133], v[146:147], v[46:47], v[132:133] op_sel:[0,0,1] op_sel_hi:[1,0,0]
	ds_read2_b64 v[146:149], v117 offset0:162 offset1:189
	s_waitcnt vmcnt(2)
	v_mov_b32_e32 v134, v55
	v_pk_mul_f32 v[136:137], v[144:145], v[134:135] op_sel_hi:[1,0]
	s_waitcnt vmcnt(0)
	v_mov_b32_e32 v132, v63
	v_pk_fma_f32 v[152:153], v[144:145], v[54:55], v[136:137] op_sel:[0,0,1] op_sel_hi:[1,1,0] neg_lo:[0,0,1] neg_hi:[0,0,1]
	v_pk_fma_f32 v[136:137], v[144:145], v[54:55], v[136:137] op_sel:[0,0,1] op_sel_hi:[1,0,0]
	s_waitcnt lgkmcnt(0)
	v_pk_mul_f32 v[144:145], v[148:149], v[52:53] op_sel:[0,1]
	v_mov_b32_e32 v136, v59
	v_pk_fma_f32 v[154:155], v[148:149], v[52:53], v[144:145] op_sel:[0,0,1] op_sel_hi:[1,1,0] neg_lo:[0,0,1] neg_hi:[0,0,1]
	v_pk_fma_f32 v[156:157], v[148:149], v[52:53], v[144:145] op_sel:[0,0,1] op_sel_hi:[1,0,0]
	ds_read2_b64 v[148:151], v119 offset0:14 offset1:41
	v_pk_mul_f32 v[144:145], v[146:147], v[56:57] op_sel:[0,1]
	v_mov_b32_e32 v47, 0x87
	v_pk_fma_f32 v[158:159], v[146:147], v[56:57], v[144:145] op_sel:[0,0,1] op_sel_hi:[1,1,0] neg_lo:[0,0,1] neg_hi:[0,0,1]
	v_pk_fma_f32 v[160:161], v[146:147], v[56:57], v[144:145] op_sel:[0,0,1] op_sel_hi:[1,0,0]
	s_waitcnt lgkmcnt(0)
	v_pk_mul_f32 v[144:145], v[148:149], v[132:133] op_sel_hi:[1,0]
	v_cndmask_b32_e32 v47, 0, v47, vcc
	v_pk_fma_f32 v[162:163], v[148:149], v[62:63], v[144:145] op_sel:[0,0,1] op_sel_hi:[1,1,0] neg_lo:[0,0,1] neg_hi:[0,0,1]
	v_pk_fma_f32 v[164:165], v[148:149], v[62:63], v[144:145] op_sel:[0,0,1] op_sel_hi:[1,0,0]
	ds_read2_b64 v[144:147], v117 offset0:108 offset1:135
	v_pk_mul_f32 v[148:149], v[150:151], v[136:137] op_sel_hi:[1,0]
	v_mov_b32_e32 v163, v165
	v_pk_fma_f32 v[166:167], v[150:151], v[58:59], v[148:149] op_sel:[0,0,1] op_sel_hi:[1,1,0] neg_lo:[0,0,1] neg_hi:[0,0,1]
	v_pk_fma_f32 v[168:169], v[150:151], v[58:59], v[148:149] op_sel:[0,0,1] op_sel_hi:[1,0,0]
	ds_read2_b64 v[148:151], v117 offset1:27
	s_waitcnt lgkmcnt(1)
	v_pk_mul_f32 v[170:171], v[146:147], v[60:61] op_sel:[0,1]
	v_mov_b32_e32 v159, v161
	v_pk_fma_f32 v[172:173], v[146:147], v[60:61], v[170:171] op_sel:[0,0,1] op_sel_hi:[1,1,0] neg_lo:[0,0,1] neg_hi:[0,0,1]
	v_pk_fma_f32 v[146:147], v[146:147], v[60:61], v[170:171] op_sel:[0,0,1] op_sel_hi:[1,0,0]
	v_mov_b32_e32 v167, v169
	v_mov_b32_e32 v173, v147
	s_waitcnt lgkmcnt(0)
	v_pk_add_f32 v[146:147], v[148:149], v[172:173]
	v_add_u32_e32 v47, v50, v47
	v_pk_add_f32 v[164:165], v[146:147], v[162:163]
	v_pk_add_f32 v[146:147], v[172:173], v[162:163]
	v_pk_add_f32 v[162:163], v[172:173], v[162:163] neg_lo:[0,1] neg_hi:[0,1]
	v_pk_fma_f32 v[146:147], v[146:147], 0.5, v[148:149] op_sel_hi:[1,0,1] neg_lo:[1,0,0] neg_hi:[1,0,0]
	v_pk_mul_f32 v[148:149], v[162:163], s[2:3] op_sel_hi:[1,0]
	v_pk_add_f32 v[50:51], v[158:159], v[166:167]
	v_pk_add_f32 v[162:163], v[146:147], v[148:149] op_sel:[0,1] op_sel_hi:[1,0] neg_lo:[0,1] neg_hi:[0,1]
	v_pk_add_f32 v[170:171], v[146:147], v[148:149] op_sel:[0,1] op_sel_hi:[1,0]
	ds_read_b64 v[172:173], v117 offset:3024
	ds_read2_b64 v[146:149], v117 offset0:54 offset1:81
	v_pk_fma_f32 v[50:51], v[50:51], 0.5, v[150:151] op_sel_hi:[1,0,1] neg_lo:[1,0,0] neg_hi:[1,0,0]
	v_pk_add_f32 v[150:151], v[150:151], v[158:159]
	v_pk_add_f32 v[158:159], v[158:159], v[166:167] neg_lo:[0,1] neg_hi:[0,1]
	v_mov_b32_e32 v174, v170
	v_pk_mul_f32 v[158:159], v[158:159], s[2:3] op_sel_hi:[1,0]
	v_mov_b32_e32 v175, v163
	v_pk_add_f32 v[160:161], v[50:51], v[158:159] op_sel:[0,1] op_sel_hi:[1,0]
	v_pk_add_f32 v[50:51], v[50:51], v[158:159] op_sel:[0,1] op_sel_hi:[1,0] neg_lo:[0,1] neg_hi:[0,1]
	v_mov_b32_e32 v163, v171
	v_pk_add_f32 v[150:151], v[150:151], v[166:167]
	v_lshl_add_u32 v47, v47, 3, v48
	v_mov_b32_e32 v158, v160
	v_mov_b32_e32 v159, v51
	v_mov_b32_e32 v155, v157
	v_mov_b32_e32 v153, v137
	s_waitcnt lgkmcnt(0)
	s_barrier
	ds_write2_b64 v117, v[164:165], v[174:175] offset1:45
	ds_write_b64 v117, v[162:163] offset:720
	ds_write2_b64 v47, v[150:151], v[158:159] offset1:45
	v_pk_add_f32 v[150:151], v[154:155], v[152:153]
	v_pk_add_f32 v[156:157], v[154:155], v[152:153] neg_lo:[0,1] neg_hi:[0,1]
	v_pk_fma_f32 v[150:151], v[150:151], 0.5, v[146:147] op_sel_hi:[1,0,1] neg_lo:[1,0,0] neg_hi:[1,0,0]
	v_pk_mul_f32 v[156:157], v[156:157], s[2:3] op_sel_hi:[1,0]
	v_mov_b32_e32 v51, v161
	v_pk_add_f32 v[158:159], v[150:151], v[156:157] op_sel:[0,1] op_sel_hi:[1,0] neg_lo:[0,1] neg_hi:[0,1]
	v_pk_add_f32 v[150:151], v[150:151], v[156:157] op_sel:[0,1] op_sel_hi:[1,0]
	ds_write_b64 v47, v[50:51] offset:720
	v_pk_add_f32 v[50:51], v[146:147], v[154:155]
	v_mov_b32_e32 v146, v150
	v_pk_add_f32 v[50:51], v[50:51], v[152:153]
	v_mov_b32_e32 v147, v159
	v_mov_b32_e32 v79, v75
	;; [unrolled: 1-line block ×3, first 2 shown]
	ds_write2_b64 v117, v[50:51], v[146:147] offset0:144 offset1:189
	v_pk_add_f32 v[50:51], v[78:79], v[140:141]
	v_pk_add_f32 v[74:75], v[148:149], v[78:79]
	v_pk_add_f32 v[78:79], v[78:79], v[140:141] neg_lo:[0,1] neg_hi:[0,1]
	v_pk_fma_f32 v[50:51], v[50:51], 0.5, v[148:149] op_sel_hi:[1,0,1] neg_lo:[1,0,0] neg_hi:[1,0,0]
	v_pk_mul_f32 v[78:79], v[78:79], s[2:3] op_sel_hi:[1,0]
	v_pk_add_f32 v[74:75], v[74:75], v[140:141]
	v_pk_add_f32 v[140:141], v[50:51], v[78:79] op_sel:[0,1] op_sel_hi:[1,0]
	v_pk_add_f32 v[50:51], v[50:51], v[78:79] op_sel:[0,1] op_sel_hi:[1,0] neg_lo:[0,1] neg_hi:[0,1]
	v_mov_b32_e32 v150, v43
	v_mov_b32_e32 v159, v151
	v_lshl_add_u32 v55, v49, 3, v48
	v_mov_b32_e32 v78, v140
	v_mov_b32_e32 v79, v51
	;; [unrolled: 1-line block ×3, first 2 shown]
	v_pk_mul_f32 v[66:67], v[172:173], v[150:151] op_sel_hi:[1,0]
	ds_write_b64 v117, v[158:159] offset:1872
	ds_write2_b64 v55, v[74:75], v[78:79] offset1:45
	v_pk_fma_f32 v[74:75], v[172:173], v[42:43], v[66:67] op_sel:[0,0,1] op_sel_hi:[1,1,0] neg_lo:[0,0,1] neg_hi:[0,0,1]
	v_pk_fma_f32 v[66:67], v[172:173], v[42:43], v[66:67] op_sel:[0,0,1] op_sel_hi:[1,0,0]
	v_pk_add_f32 v[78:79], v[144:145], v[70:71]
	v_mov_b32_e32 v75, v67
	v_pk_add_f32 v[66:67], v[70:71], v[74:75]
	v_pk_add_f32 v[70:71], v[70:71], v[74:75] neg_lo:[0,1] neg_hi:[0,1]
	v_pk_fma_f32 v[66:67], v[66:67], 0.5, v[144:145] op_sel_hi:[1,0,1] neg_lo:[1,0,0] neg_hi:[1,0,0]
	v_mov_b32_e32 v51, v141
	v_pk_mul_f32 v[70:71], v[70:71], s[2:3] op_sel_hi:[1,0]
	ds_write_b64 v55, v[50:51] offset:720
	v_pk_add_f32 v[50:51], v[78:79], v[74:75]
	v_pk_add_f32 v[74:75], v[66:67], v[70:71] op_sel:[0,1] op_sel_hi:[1,0]
	v_pk_add_f32 v[66:67], v[66:67], v[70:71] op_sel:[0,1] op_sel_hi:[1,0] neg_lo:[0,1] neg_hi:[0,1]
	v_lshl_add_u32 v43, v69, 3, v48
	v_mov_b32_e32 v48, v74
	v_mov_b32_e32 v49, v67
	v_add_u32_e32 v107, 0x800, v43
	v_mov_b32_e32 v67, v75
	ds_write2_b64 v107, v[50:51], v[48:49] offset0:14 offset1:59
	ds_write_b64 v43, v[66:67] offset:2880
	s_waitcnt lgkmcnt(0)
	s_barrier
	global_load_dwordx4 v[48:51], v77, s[10:11] offset:1040
	ds_read2_b64 v[144:147], v119 offset0:14 offset1:41
	global_load_dwordx4 v[64:67], v64, s[10:11] offset:1040
	ds_read2_b64 v[152:155], v117 offset0:162 offset1:189
	;; [unrolled: 2-line block ×3, first 2 shown]
	global_load_dwordx4 v[72:75], v72, s[10:11] offset:1040
	s_waitcnt vmcnt(3)
	v_mov_b32_e32 v140, v51
	global_load_dwordx4 v[76:79], v76, s[10:11] offset:1040
	s_waitcnt lgkmcnt(2)
	v_pk_mul_f32 v[148:149], v[144:145], v[140:141] op_sel_hi:[1,0]
	s_nop 0
	v_pk_fma_f32 v[160:161], v[144:145], v[50:51], v[148:149] op_sel:[0,0,1] op_sel_hi:[1,1,0] neg_lo:[0,0,1] neg_hi:[0,0,1]
	v_pk_fma_f32 v[144:145], v[144:145], v[50:51], v[148:149] op_sel:[0,0,1] op_sel_hi:[1,0,0]
	s_waitcnt vmcnt(3)
	v_mov_b32_e32 v144, v67
	v_pk_mul_f32 v[148:149], v[146:147], v[144:145] op_sel_hi:[1,0]
	v_mov_b32_e32 v161, v145
	v_pk_fma_f32 v[162:163], v[146:147], v[66:67], v[148:149] op_sel:[0,0,1] op_sel_hi:[1,1,0] neg_lo:[0,0,1] neg_hi:[0,0,1]
	v_pk_fma_f32 v[146:147], v[146:147], v[66:67], v[148:149] op_sel:[0,0,1] op_sel_hi:[1,0,0]
	s_waitcnt lgkmcnt(1)
	v_pk_mul_f32 v[148:149], v[152:153], v[64:65] op_sel:[0,1]
	s_waitcnt vmcnt(2)
	v_mov_b32_e32 v146, v71
	v_pk_fma_f32 v[164:165], v[152:153], v[64:65], v[148:149] op_sel:[0,0,1] op_sel_hi:[1,1,0] neg_lo:[0,0,1] neg_hi:[0,0,1]
	v_pk_fma_f32 v[148:149], v[152:153], v[64:65], v[148:149] op_sel:[0,0,1] op_sel_hi:[1,0,0]
	v_pk_mul_f32 v[152:153], v[154:155], v[68:69] op_sel:[0,1]
	s_waitcnt vmcnt(1)
	v_mov_b32_e32 v148, v75
	v_pk_fma_f32 v[166:167], v[154:155], v[68:69], v[152:153] op_sel:[0,0,1] op_sel_hi:[1,1,0] neg_lo:[0,0,1] neg_hi:[0,0,1]
	v_pk_fma_f32 v[168:169], v[154:155], v[68:69], v[152:153] op_sel:[0,0,1] op_sel_hi:[1,0,0]
	s_waitcnt lgkmcnt(0)
	v_pk_mul_f32 v[152:153], v[156:157], v[146:147] op_sel_hi:[1,0]
	v_mov_b32_e32 v165, v149
	v_pk_fma_f32 v[170:171], v[156:157], v[70:71], v[152:153] op_sel:[0,0,1] op_sel_hi:[1,1,0] neg_lo:[0,0,1] neg_hi:[0,0,1]
	v_pk_fma_f32 v[172:173], v[156:157], v[70:71], v[152:153] op_sel:[0,0,1] op_sel_hi:[1,0,0]
	ds_read2_b64 v[152:155], v117 offset0:216 offset1:243
	v_pk_mul_f32 v[156:157], v[158:159], v[148:149] op_sel_hi:[1,0]
	v_mov_b32_e32 v163, v147
	v_pk_fma_f32 v[174:175], v[158:159], v[74:75], v[156:157] op_sel:[0,0,1] op_sel_hi:[1,1,0] neg_lo:[0,0,1] neg_hi:[0,0,1]
	v_pk_fma_f32 v[176:177], v[158:159], v[74:75], v[156:157] op_sel:[0,0,1] op_sel_hi:[1,0,0]
	ds_read2_b64 v[156:159], v117 offset0:108 offset1:135
	s_waitcnt lgkmcnt(1)
	v_pk_mul_f32 v[178:179], v[152:153], v[72:73] op_sel:[0,1]
	v_mov_b32_e32 v167, v169
	v_pk_fma_f32 v[180:181], v[152:153], v[72:73], v[178:179] op_sel:[0,0,1] op_sel_hi:[1,1,0] neg_lo:[0,0,1] neg_hi:[0,0,1]
	v_pk_fma_f32 v[178:179], v[152:153], v[72:73], v[178:179] op_sel:[0,0,1] op_sel_hi:[1,0,0]
	v_mov_b32_e32 v171, v173
	v_mov_b32_e32 v181, v179
	;; [unrolled: 1-line block ×3, first 2 shown]
	s_waitcnt vmcnt(0)
	v_pk_mul_f32 v[152:153], v[154:155], v[76:77] op_sel:[0,1]
	s_nop 0
	v_pk_fma_f32 v[182:183], v[154:155], v[76:77], v[152:153] op_sel:[0,0,1] op_sel_hi:[1,1,0] neg_lo:[0,0,1] neg_hi:[0,0,1]
	v_pk_fma_f32 v[184:185], v[154:155], v[76:77], v[152:153] op_sel:[0,0,1] op_sel_hi:[1,0,0]
	s_waitcnt lgkmcnt(0)
	v_pk_mul_f32 v[152:153], v[158:159], v[48:49] op_sel:[0,1]
	v_mov_b32_e32 v183, v185
	v_pk_fma_f32 v[186:187], v[158:159], v[48:49], v[152:153] op_sel:[0,0,1] op_sel_hi:[1,1,0] neg_lo:[0,0,1] neg_hi:[0,0,1]
	v_pk_fma_f32 v[158:159], v[158:159], v[48:49], v[152:153] op_sel:[0,0,1] op_sel_hi:[1,0,0]
	ds_read2_b64 v[152:155], v117 offset1:27
	v_mov_b32_e32 v187, v159
	s_waitcnt lgkmcnt(0)
	v_pk_add_f32 v[158:159], v[152:153], v[186:187]
	s_nop 0
	v_pk_add_f32 v[188:189], v[158:159], v[160:161]
	v_pk_add_f32 v[158:159], v[186:187], v[160:161]
	v_pk_add_f32 v[160:161], v[186:187], v[160:161] neg_lo:[0,1] neg_hi:[0,1]
	v_pk_fma_f32 v[152:153], v[158:159], 0.5, v[152:153] op_sel_hi:[1,0,1] neg_lo:[1,0,0] neg_hi:[1,0,0]
	v_pk_mul_f32 v[158:159], v[160:161], s[2:3] op_sel_hi:[1,0]
	s_nop 0
	v_pk_add_f32 v[186:187], v[152:153], v[158:159] op_sel:[0,1] op_sel_hi:[1,0]
	v_pk_add_f32 v[152:153], v[152:153], v[158:159] op_sel:[0,1] op_sel_hi:[1,0] neg_lo:[0,1] neg_hi:[0,1]
	ds_read2_b64 v[158:161], v117 offset0:54 offset1:81
	v_mov_b32_e32 v191, v153
	v_mov_b32_e32 v153, v187
	ds_write_b64 v117, v[152:153] offset:2160
	v_pk_add_f32 v[152:153], v[154:155], v[164:165]
	v_mov_b32_e32 v190, v186
	v_pk_add_f32 v[152:153], v[152:153], v[162:163]
	ds_write_b64 v117, v[190:191] offset:1080
	ds_read_b64 v[186:187], v117 offset:3024
	ds_write2_b64 v117, v[188:189], v[152:153] offset1:27
	v_pk_add_f32 v[152:153], v[164:165], v[162:163]
	s_nop 0
	v_pk_fma_f32 v[152:153], v[152:153], 0.5, v[154:155] op_sel_hi:[1,0,1] neg_lo:[1,0,0] neg_hi:[1,0,0]
	v_pk_add_f32 v[154:155], v[164:165], v[162:163] neg_lo:[0,1] neg_hi:[0,1]
	v_pk_add_f32 v[164:165], v[166:167], v[170:171] neg_lo:[0,1] neg_hi:[0,1]
	v_pk_mul_f32 v[154:155], v[154:155], s[2:3] op_sel_hi:[1,0]
	v_pk_mul_f32 v[164:165], v[164:165], s[2:3] op_sel_hi:[1,0]
	v_pk_add_f32 v[162:163], v[152:153], v[154:155] op_sel:[0,1] op_sel_hi:[1,0]
	v_pk_add_f32 v[152:153], v[152:153], v[154:155] op_sel:[0,1] op_sel_hi:[1,0] neg_lo:[0,1] neg_hi:[0,1]
	v_pk_add_f32 v[154:155], v[166:167], v[170:171]
	s_waitcnt lgkmcnt(4)
	v_pk_fma_f32 v[154:155], v[154:155], 0.5, v[158:159] op_sel_hi:[1,0,1] neg_lo:[1,0,0] neg_hi:[1,0,0]
	s_nop 0
	v_pk_add_f32 v[168:169], v[154:155], v[164:165] op_sel:[0,1] op_sel_hi:[1,0]
	v_pk_add_f32 v[154:155], v[154:155], v[164:165] op_sel:[0,1] op_sel_hi:[1,0] neg_lo:[0,1] neg_hi:[0,1]
	v_mov_b32_e32 v165, v153
	v_mov_b32_e32 v173, v155
	;; [unrolled: 1-line block ×4, first 2 shown]
	ds_write2_b64 v119, v[152:153], v[154:155] offset0:41 offset1:68
	v_pk_add_f32 v[152:153], v[158:159], v[166:167]
	v_pk_add_f32 v[154:155], v[160:161], v[180:181]
	v_mov_b32_e32 v164, v162
	v_mov_b32_e32 v172, v168
	v_pk_add_f32 v[152:153], v[152:153], v[170:171]
	v_pk_add_f32 v[154:155], v[154:155], v[174:175]
	ds_write2_b64 v117, v[164:165], v[172:173] offset0:162 offset1:189
	ds_write2_b64 v117, v[152:153], v[154:155] offset0:54 offset1:81
	v_pk_add_f32 v[152:153], v[180:181], v[174:175]
	v_pk_add_f32 v[162:163], v[180:181], v[174:175] neg_lo:[0,1] neg_hi:[0,1]
	v_pk_fma_f32 v[154:155], v[152:153], 0.5, v[160:161] op_sel_hi:[1,0,1] neg_lo:[1,0,0] neg_hi:[1,0,0]
	v_mov_b32_e32 v152, v79
	s_waitcnt lgkmcnt(4)
	v_pk_mul_f32 v[158:159], v[186:187], v[152:153] op_sel_hi:[1,0]
	v_pk_mul_f32 v[162:163], v[162:163], s[2:3] op_sel_hi:[1,0]
	v_pk_fma_f32 v[160:161], v[186:187], v[78:79], v[158:159] op_sel:[0,0,1] op_sel_hi:[1,1,0] neg_lo:[0,0,1] neg_hi:[0,0,1]
	v_pk_fma_f32 v[158:159], v[186:187], v[78:79], v[158:159] op_sel:[0,0,1] op_sel_hi:[1,0,0]
	v_pk_add_f32 v[164:165], v[154:155], v[162:163] op_sel:[0,1] op_sel_hi:[1,0]
	v_mov_b32_e32 v161, v159
	v_pk_add_f32 v[158:159], v[182:183], v[160:161]
	v_pk_add_f32 v[154:155], v[154:155], v[162:163] op_sel:[0,1] op_sel_hi:[1,0] neg_lo:[0,1] neg_hi:[0,1]
	v_pk_fma_f32 v[158:159], v[158:159], 0.5, v[156:157] op_sel_hi:[1,0,1] neg_lo:[1,0,0] neg_hi:[1,0,0]
	v_pk_add_f32 v[156:157], v[156:157], v[182:183]
	v_mov_b32_e32 v163, v155
	v_mov_b32_e32 v155, v165
	ds_write_b64 v117, v[154:155] offset:2808
	v_pk_add_f32 v[154:155], v[156:157], v[160:161]
	ds_write_b64 v117, v[154:155] offset:864
	v_pk_add_f32 v[154:155], v[182:183], v[160:161] neg_lo:[0,1] neg_hi:[0,1]
	v_mov_b32_e32 v162, v164
	v_pk_mul_f32 v[154:155], v[154:155], s[2:3] op_sel_hi:[1,0]
	s_nop 0
	v_pk_add_f32 v[156:157], v[158:159], v[154:155] op_sel:[0,1] op_sel_hi:[1,0]
	v_pk_add_f32 v[154:155], v[158:159], v[154:155] op_sel:[0,1] op_sel_hi:[1,0] neg_lo:[0,1] neg_hi:[0,1]
	v_mov_b32_e32 v158, v156
	v_mov_b32_e32 v159, v155
	;; [unrolled: 1-line block ×3, first 2 shown]
	ds_write2_b64 v117, v[162:163], v[158:159] offset0:216 offset1:243
	ds_write_b64 v117, v[154:155] offset:3024
	s_waitcnt lgkmcnt(0)
	s_barrier
	global_load_dwordx2 v[158:159], v121, s[8:9] offset:3240
	global_load_dwordx2 v[162:163], v121, s[16:17] offset:216
	;; [unrolled: 1-line block ×15, first 2 shown]
	ds_read2_b64 v[154:157], v117 offset1:27
	s_waitcnt vmcnt(14) lgkmcnt(0)
	v_mul_f32_e32 v51, v155, v159
	v_mul_f32_e32 v191, v154, v159
	v_fma_f32 v190, v154, v158, -v51
	v_fmac_f32_e32 v191, v155, v158
	ds_read2_b64 v[158:161], v117 offset0:162 offset1:189
	s_waitcnt vmcnt(13)
	v_mul_f32_e32 v51, v157, v163
	v_mul_f32_e32 v193, v156, v163
	v_fma_f32 v192, v156, v162, -v51
	v_fmac_f32_e32 v193, v157, v162
	ds_read2_b64 v[154:157], v119 offset0:68 offset1:95
	s_waitcnt vmcnt(12) lgkmcnt(1)
	v_mul_f32_e32 v51, v159, v165
	v_fma_f32 v162, v158, v164, -v51
	v_mul_f32_e32 v163, v158, v165
	s_waitcnt vmcnt(11)
	v_mul_f32_e32 v51, v161, v167
	v_mul_f32_e32 v165, v160, v167
	v_fmac_f32_e32 v163, v159, v164
	v_fma_f32 v164, v160, v166, -v51
	v_fmac_f32_e32 v165, v161, v166
	s_waitcnt vmcnt(10) lgkmcnt(0)
	v_mul_f32_e32 v51, v155, v169
	ds_read2_b64 v[158:161], v117 offset0:54 offset1:81
	v_fma_f32 v166, v154, v168, -v51
	v_mul_f32_e32 v167, v154, v169
	s_waitcnt vmcnt(9)
	v_mul_f32_e32 v51, v157, v171
	v_mul_f32_e32 v169, v156, v171
	v_fmac_f32_e32 v167, v155, v168
	v_fma_f32 v168, v156, v170, -v51
	v_fmac_f32_e32 v169, v157, v170
	ds_read2_b64 v[154:157], v117 offset0:108 offset1:135
	s_waitcnt vmcnt(8) lgkmcnt(1)
	v_mul_f32_e32 v51, v161, v173
	v_fma_f32 v170, v160, v172, -v51
	v_mul_f32_e32 v171, v160, v173
	s_waitcnt vmcnt(6)
	v_mul_f32_e32 v51, v159, v177
	v_mul_f32_e32 v173, v158, v177
	v_fmac_f32_e32 v171, v161, v172
	v_fma_f32 v172, v158, v176, -v51
	v_fmac_f32_e32 v173, v159, v176
	s_waitcnt lgkmcnt(0)
	v_mul_f32_e32 v51, v155, v175
	ds_read2_b64 v[158:161], v117 offset0:216 offset1:243
	v_fma_f32 v176, v154, v174, -v51
	v_mul_f32_e32 v177, v154, v175
	s_waitcnt vmcnt(4)
	v_mul_f32_e32 v51, v157, v181
	v_mul_f32_e32 v175, v156, v181
	v_fmac_f32_e32 v177, v155, v174
	v_fma_f32 v174, v156, v180, -v51
	v_fmac_f32_e32 v175, v157, v180
	ds_read2_b64 v[154:157], v119 offset0:14 offset1:41
	s_waitcnt vmcnt(3) lgkmcnt(1)
	v_mul_f32_e32 v51, v161, v183
	v_mul_f32_e32 v181, v160, v183
	v_fma_f32 v180, v160, v182, -v51
	v_fmac_f32_e32 v181, v161, v182
	v_mul_f32_e32 v51, v159, v179
	v_mul_f32_e32 v161, v158, v179
	v_fma_f32 v160, v158, v178, -v51
	v_fmac_f32_e32 v161, v159, v178
	s_waitcnt vmcnt(2) lgkmcnt(0)
	v_mul_f32_e32 v51, v155, v185
	v_mul_f32_e32 v159, v154, v185
	v_fma_f32 v158, v154, v184, -v51
	v_fmac_f32_e32 v159, v155, v184
	s_waitcnt vmcnt(1)
	v_mul_f32_e32 v51, v157, v187
	v_mul_f32_e32 v155, v156, v187
	ds_write2_b64 v117, v[190:191], v[192:193] offset1:27
	ds_write2_b64 v117, v[162:163], v[164:165] offset0:162 offset1:189
	ds_write2_b64 v119, v[166:167], v[168:169] offset0:68 offset1:95
	v_fma_f32 v154, v156, v186, -v51
	v_fmac_f32_e32 v155, v157, v186
	ds_read_b64 v[156:157], v117 offset:3024
	ds_write2_b64 v117, v[172:173], v[170:171] offset0:54 offset1:81
	ds_write2_b64 v117, v[176:177], v[174:175] offset0:108 offset1:135
	ds_write2_b64 v117, v[160:161], v[180:181] offset0:216 offset1:243
	ds_write2_b64 v119, v[158:159], v[154:155] offset0:14 offset1:41
	s_waitcnt vmcnt(0) lgkmcnt(4)
	v_mul_f32_e32 v51, v157, v189
	v_mul_f32_e32 v155, v156, v189
	v_fma_f32 v154, v156, v188, -v51
	v_fmac_f32_e32 v155, v157, v188
	ds_write_b64 v117, v[154:155] offset:3024
	s_waitcnt lgkmcnt(0)
	s_barrier
	ds_read2_b64 v[154:157], v117 offset0:162 offset1:189
	ds_read2_b64 v[158:161], v117 offset0:54 offset1:81
	;; [unrolled: 1-line block ×4, first 2 shown]
	ds_read2_b64 v[170:173], v117 offset1:27
	s_waitcnt lgkmcnt(3)
	v_pk_add_f32 v[174:175], v[160:161], v[154:155] neg_lo:[0,1] neg_hi:[0,1]
	s_waitcnt lgkmcnt(2)
	v_pk_add_f32 v[184:185], v[160:161], v[162:163] neg_lo:[0,1] neg_hi:[0,1]
	;; [unrolled: 2-line block ×3, first 2 shown]
	v_pk_add_f32 v[186:187], v[154:155], v[168:169] neg_lo:[0,1] neg_hi:[0,1]
	v_pk_add_f32 v[182:183], v[174:175], v[176:177]
	v_pk_add_f32 v[174:175], v[154:155], v[168:169]
	v_pk_mul_f32 v[176:177], v[184:185], s[12:13] op_sel_hi:[1,0]
	s_waitcnt lgkmcnt(0)
	v_pk_fma_f32 v[174:175], v[174:175], 0.5, v[170:171] op_sel_hi:[1,0,1] neg_lo:[1,0,0] neg_hi:[1,0,0]
	s_nop 0
	v_pk_add_f32 v[178:179], v[174:175], v[176:177] op_sel:[0,1] op_sel_hi:[1,0] neg_lo:[0,1] neg_hi:[0,1]
	v_pk_add_f32 v[174:175], v[174:175], v[176:177] op_sel:[0,1] op_sel_hi:[1,0]
	v_pk_mul_f32 v[176:177], v[186:187], s[18:19] op_sel_hi:[1,0]
	s_nop 0
	v_pk_add_f32 v[188:189], v[174:175], v[176:177] op_sel:[0,1] op_sel_hi:[1,0]
	v_pk_add_f32 v[174:175], v[170:171], v[160:161]
	v_pk_add_f32 v[190:191], v[178:179], v[176:177] op_sel:[0,1] op_sel_hi:[1,0] neg_lo:[0,1] neg_hi:[0,1]
	v_pk_add_f32 v[174:175], v[174:175], v[154:155]
	v_pk_add_f32 v[154:155], v[154:155], v[160:161] neg_lo:[0,1] neg_hi:[0,1]
	v_pk_add_f32 v[174:175], v[174:175], v[168:169]
	v_pk_add_f32 v[160:161], v[160:161], v[162:163]
	;; [unrolled: 1-line block ×3, first 2 shown]
	ds_read_b64 v[194:195], v117 offset:3024
	ds_read2_b64 v[174:177], v117 offset0:108 offset1:135
	ds_read2_b64 v[178:181], v119 offset0:14 offset1:41
	v_pk_add_f32 v[168:169], v[168:169], v[162:163] neg_lo:[0,1] neg_hi:[0,1]
	v_pk_fma_f32 v[160:161], v[160:161], 0.5, v[170:171] op_sel_hi:[1,0,1] neg_lo:[1,0,0] neg_hi:[1,0,0]
	v_pk_mul_f32 v[162:163], v[186:187], s[12:13] op_sel_hi:[1,0]
	v_pk_add_f32 v[154:155], v[154:155], v[168:169]
	v_pk_add_f32 v[168:169], v[160:161], v[162:163] op_sel:[0,1] op_sel_hi:[1,0]
	v_pk_add_f32 v[160:161], v[160:161], v[162:163] op_sel:[0,1] op_sel_hi:[1,0] neg_lo:[0,1] neg_hi:[0,1]
	v_pk_mul_f32 v[162:163], v[184:185], s[18:19] op_sel_hi:[1,0]
	v_mov_b32_e32 v197, v189
	v_pk_add_f32 v[160:161], v[160:161], v[162:163] op_sel:[0,1] op_sel_hi:[1,0]
	v_pk_add_f32 v[162:163], v[168:169], v[162:163] op_sel:[0,1] op_sel_hi:[1,0] neg_lo:[0,1] neg_hi:[0,1]
	v_mov_b32_e32 v169, v161
	v_mov_b32_e32 v168, v162
	;; [unrolled: 1-line block ×3, first 2 shown]
	v_pk_fma_f32 v[162:163], v[154:155], s[14:15], v[168:169] op_sel_hi:[1,0,1]
	v_pk_fma_f32 v[154:155], v[154:155], s[14:15], v[160:161] op_sel_hi:[1,0,1]
	v_mov_b32_e32 v189, v191
	s_waitcnt lgkmcnt(0)
	s_barrier
	ds_write2_b64 v123, v[162:163], v[154:155] offset0:2 offset1:3
	v_pk_fma_f32 v[154:155], v[182:183], s[14:15], v[188:189] op_sel_hi:[1,0,1]
	v_pk_add_f32 v[168:169], v[174:175], v[156:157] neg_lo:[0,1] neg_hi:[0,1]
	v_pk_add_f32 v[170:171], v[164:165], v[178:179] neg_lo:[0,1] neg_hi:[0,1]
	ds_write_b64 v123, v[154:155] offset:32
	v_pk_add_f32 v[154:155], v[156:157], v[178:179]
	v_pk_add_f32 v[160:161], v[174:175], v[164:165]
	;; [unrolled: 1-line block ×3, first 2 shown]
	v_pk_add_f32 v[170:171], v[174:175], v[164:165] neg_lo:[0,1] neg_hi:[0,1]
	v_mov_b32_e32 v196, v190
	v_pk_fma_f32 v[154:155], v[154:155], 0.5, v[172:173] op_sel_hi:[1,0,1] neg_lo:[1,0,0] neg_hi:[1,0,0]
	v_pk_fma_f32 v[160:161], v[160:161], 0.5, v[172:173] op_sel_hi:[1,0,1] neg_lo:[1,0,0] neg_hi:[1,0,0]
	v_pk_add_f32 v[162:163], v[172:173], v[174:175]
	v_pk_mul_f32 v[172:173], v[170:171], s[12:13] op_sel_hi:[1,0]
	v_pk_fma_f32 v[196:197], v[182:183], s[14:15], v[196:197] op_sel_hi:[1,0,1]
	v_pk_add_f32 v[182:183], v[154:155], v[172:173] op_sel:[0,1] op_sel_hi:[1,0] neg_lo:[0,1] neg_hi:[0,1]
	v_pk_add_f32 v[154:155], v[154:155], v[172:173] op_sel:[0,1] op_sel_hi:[1,0]
	v_pk_add_f32 v[172:173], v[156:157], v[178:179] neg_lo:[0,1] neg_hi:[0,1]
	v_pk_add_f32 v[162:163], v[162:163], v[156:157]
	v_pk_mul_f32 v[184:185], v[172:173], s[18:19] op_sel_hi:[1,0]
	v_pk_add_f32 v[162:163], v[162:163], v[178:179]
	v_pk_add_f32 v[154:155], v[154:155], v[184:185] op_sel:[0,1] op_sel_hi:[1,0]
	v_pk_add_f32 v[182:183], v[182:183], v[184:185] op_sel:[0,1] op_sel_hi:[1,0] neg_lo:[0,1] neg_hi:[0,1]
	v_mov_b32_e32 v185, v155
	v_mov_b32_e32 v184, v182
	v_pk_add_f32 v[162:163], v[162:163], v[164:165]
	v_pk_fma_f32 v[184:185], v[168:169], s[14:15], v[184:185] op_sel_hi:[1,0,1]
	ds_write2_b64 v123, v[192:193], v[196:197] offset1:1
	ds_write2_b64 v127, v[162:163], v[184:185] offset1:1
	v_pk_add_f32 v[156:157], v[156:157], v[174:175] neg_lo:[0,1] neg_hi:[0,1]
	v_pk_add_f32 v[162:163], v[178:179], v[164:165] neg_lo:[0,1] neg_hi:[0,1]
	v_mov_b32_e32 v155, v183
	v_pk_add_f32 v[156:157], v[156:157], v[162:163]
	v_pk_mul_f32 v[162:163], v[172:173], s[12:13] op_sel_hi:[1,0]
	v_pk_fma_f32 v[154:155], v[168:169], s[14:15], v[154:155] op_sel_hi:[1,0,1]
	v_pk_add_f32 v[164:165], v[160:161], v[162:163] op_sel:[0,1] op_sel_hi:[1,0]
	v_pk_add_f32 v[160:161], v[160:161], v[162:163] op_sel:[0,1] op_sel_hi:[1,0] neg_lo:[0,1] neg_hi:[0,1]
	v_pk_mul_f32 v[162:163], v[170:171], s[18:19] op_sel_hi:[1,0]
	ds_write_b64 v127, v[154:155] offset:32
	v_pk_add_f32 v[160:161], v[160:161], v[162:163] op_sel:[0,1] op_sel_hi:[1,0]
	v_pk_add_f32 v[162:163], v[164:165], v[162:163] op_sel:[0,1] op_sel_hi:[1,0] neg_lo:[0,1] neg_hi:[0,1]
	v_mov_b32_e32 v165, v161
	v_mov_b32_e32 v164, v162
	;; [unrolled: 1-line block ×3, first 2 shown]
	v_pk_fma_f32 v[162:163], v[156:157], s[14:15], v[164:165] op_sel_hi:[1,0,1]
	v_pk_fma_f32 v[156:157], v[156:157], s[14:15], v[160:161] op_sel_hi:[1,0,1]
	ds_write2_b64 v127, v[162:163], v[156:157] offset0:2 offset1:3
	v_pk_add_f32 v[154:155], v[176:177], v[166:167] neg_lo:[0,1] neg_hi:[0,1]
	v_pk_add_f32 v[156:157], v[194:195], v[180:181] neg_lo:[0,1] neg_hi:[0,1]
	;; [unrolled: 1-line block ×3, first 2 shown]
	v_pk_add_f32 v[154:155], v[154:155], v[156:157]
	v_pk_add_f32 v[156:157], v[166:167], v[180:181]
	v_pk_mul_f32 v[162:163], v[160:161], s[12:13] op_sel_hi:[1,0]
	v_pk_fma_f32 v[156:157], v[156:157], 0.5, v[158:159] op_sel_hi:[1,0,1] neg_lo:[1,0,0] neg_hi:[1,0,0]
	v_pk_mul_f32 v[160:161], v[160:161], s[18:19] op_sel_hi:[1,0]
	v_pk_add_f32 v[164:165], v[156:157], v[162:163] op_sel:[0,1] op_sel_hi:[1,0] neg_lo:[0,1] neg_hi:[0,1]
	v_pk_add_f32 v[156:157], v[156:157], v[162:163] op_sel:[0,1] op_sel_hi:[1,0]
	v_pk_add_f32 v[162:163], v[166:167], v[180:181] neg_lo:[0,1] neg_hi:[0,1]
	s_nop 0
	v_pk_mul_f32 v[168:169], v[162:163], s[18:19] op_sel_hi:[1,0]
	v_pk_mul_f32 v[162:163], v[162:163], s[12:13] op_sel_hi:[1,0]
	v_pk_add_f32 v[156:157], v[156:157], v[168:169] op_sel:[0,1] op_sel_hi:[1,0]
	v_pk_add_f32 v[164:165], v[164:165], v[168:169] op_sel:[0,1] op_sel_hi:[1,0] neg_lo:[0,1] neg_hi:[0,1]
	v_pk_add_f32 v[168:169], v[158:159], v[176:177]
	v_mov_b32_e32 v170, v164
	v_pk_add_f32 v[168:169], v[168:169], v[166:167]
	v_mov_b32_e32 v171, v157
	v_pk_add_f32 v[168:169], v[168:169], v[180:181]
	v_pk_fma_f32 v[170:171], v[154:155], s[14:15], v[170:171] op_sel_hi:[1,0,1]
	v_pk_add_f32 v[168:169], v[168:169], v[194:195]
	ds_write2_b64 v125, v[168:169], v[170:171] offset1:1
	v_pk_add_f32 v[168:169], v[176:177], v[194:195]
	v_pk_add_f32 v[166:167], v[166:167], v[176:177] neg_lo:[0,1] neg_hi:[0,1]
	v_pk_fma_f32 v[158:159], v[168:169], 0.5, v[158:159] op_sel_hi:[1,0,1] neg_lo:[1,0,0] neg_hi:[1,0,0]
	v_pk_add_f32 v[168:169], v[180:181], v[194:195] neg_lo:[0,1] neg_hi:[0,1]
	v_mov_b32_e32 v157, v165
	v_pk_add_f32 v[166:167], v[166:167], v[168:169]
	v_pk_add_f32 v[168:169], v[158:159], v[162:163] op_sel:[0,1] op_sel_hi:[1,0]
	v_pk_add_f32 v[158:159], v[158:159], v[162:163] op_sel:[0,1] op_sel_hi:[1,0] neg_lo:[0,1] neg_hi:[0,1]
	v_pk_fma_f32 v[154:155], v[154:155], s[14:15], v[156:157] op_sel_hi:[1,0,1]
	v_pk_add_f32 v[158:159], v[158:159], v[160:161] op_sel:[0,1] op_sel_hi:[1,0]
	v_pk_add_f32 v[160:161], v[168:169], v[160:161] op_sel:[0,1] op_sel_hi:[1,0] neg_lo:[0,1] neg_hi:[0,1]
	v_mov_b32_e32 v163, v159
	v_mov_b32_e32 v162, v160
	v_mov_b32_e32 v159, v161
	v_pk_fma_f32 v[160:161], v[166:167], s[14:15], v[162:163] op_sel_hi:[1,0,1]
	v_pk_fma_f32 v[158:159], v[166:167], s[14:15], v[158:159] op_sel_hi:[1,0,1]
	ds_write2_b64 v125, v[160:161], v[158:159] offset0:2 offset1:3
	ds_write_b64 v125, v[154:155] offset:32
	s_waitcnt lgkmcnt(0)
	s_barrier
	ds_read_b64 v[158:159], v117 offset:3024
	ds_read2_b64 v[154:157], v117 offset0:216 offset1:243
	s_waitcnt lgkmcnt(1)
	v_pk_mul_f32 v[130:131], v[130:131], v[158:159] op_sel_hi:[0,1]
	v_pk_fma_f32 v[162:163], v[6:7], v[158:159], v[130:131] op_sel:[0,0,1] op_sel_hi:[1,1,0]
	v_pk_fma_f32 v[130:131], v[6:7], v[158:159], v[130:131] op_sel:[0,0,1] op_sel_hi:[0,1,0] neg_lo:[0,0,1] neg_hi:[0,0,1]
	ds_read2_b64 v[158:161], v119 offset0:68 offset1:95
	s_waitcnt lgkmcnt(1)
	v_pk_mul_f32 v[164:165], v[4:5], v[156:157] op_sel:[1,0]
	v_mov_b32_e32 v163, v131
	v_pk_fma_f32 v[166:167], v[4:5], v[156:157], v[164:165] op_sel:[0,0,1] op_sel_hi:[1,1,0]
	v_pk_fma_f32 v[4:5], v[4:5], v[156:157], v[164:165] op_sel:[0,0,1] op_sel_hi:[0,1,0] neg_lo:[0,0,1] neg_hi:[0,0,1]
	v_pk_mul_f32 v[156:157], v[0:1], v[154:155] op_sel:[1,0]
	s_waitcnt lgkmcnt(0)
	v_pk_mul_f32 v[120:121], v[120:121], v[160:161] op_sel_hi:[0,1]
	v_pk_fma_f32 v[164:165], v[0:1], v[154:155], v[156:157] op_sel:[0,0,1] op_sel_hi:[1,1,0]
	v_pk_fma_f32 v[0:1], v[0:1], v[154:155], v[156:157] op_sel:[0,0,1] op_sel_hi:[0,1,0] neg_lo:[0,0,1] neg_hi:[0,0,1]
	ds_read2_b64 v[154:157], v117 offset0:162 offset1:189
	v_pk_fma_f32 v[168:169], v[2:3], v[160:161], v[120:121] op_sel:[0,0,1] op_sel_hi:[1,1,0]
	v_pk_fma_f32 v[120:121], v[2:3], v[160:161], v[120:121] op_sel:[0,0,1] op_sel_hi:[0,1,0] neg_lo:[0,0,1] neg_hi:[0,0,1]
	v_pk_mul_f32 v[160:161], v[118:119], v[158:159] op_sel_hi:[0,1]
	v_pk_fma_f32 v[170:171], v[10:11], v[158:159], v[160:161] op_sel:[0,0,1] op_sel_hi:[1,1,0]
	v_pk_fma_f32 v[172:173], v[10:11], v[158:159], v[160:161] op_sel:[0,0,1] op_sel_hi:[0,1,0] neg_lo:[0,0,1] neg_hi:[0,0,1]
	ds_read2_b64 v[158:161], v119 offset0:14 offset1:41
	s_waitcnt lgkmcnt(1)
	v_pk_mul_f32 v[174:175], v[8:9], v[156:157] op_sel:[1,0]
	v_mov_b32_e32 v171, v173
	v_pk_fma_f32 v[176:177], v[8:9], v[156:157], v[174:175] op_sel:[0,0,1] op_sel_hi:[1,1,0]
	v_pk_fma_f32 v[8:9], v[8:9], v[156:157], v[174:175] op_sel:[0,0,1] op_sel_hi:[0,1,0] neg_lo:[0,0,1] neg_hi:[0,0,1]
	v_pk_mul_f32 v[156:157], v[12:13], v[154:155] op_sel:[1,0]
	s_waitcnt lgkmcnt(0)
	v_pk_mul_f32 v[178:179], v[114:115], v[160:161] op_sel_hi:[0,1]
	v_pk_fma_f32 v[174:175], v[12:13], v[154:155], v[156:157] op_sel:[0,0,1] op_sel_hi:[1,1,0]
	v_pk_fma_f32 v[12:13], v[12:13], v[154:155], v[156:157] op_sel:[0,0,1] op_sel_hi:[0,1,0] neg_lo:[0,0,1] neg_hi:[0,0,1]
	ds_read2_b64 v[154:157], v117 offset0:108 offset1:135
	v_pk_fma_f32 v[180:181], v[14:15], v[160:161], v[178:179] op_sel:[0,0,1] op_sel_hi:[1,1,0]
	v_pk_fma_f32 v[178:179], v[14:15], v[160:161], v[178:179] op_sel:[0,0,1] op_sel_hi:[0,1,0] neg_lo:[0,0,1] neg_hi:[0,0,1]
	v_pk_mul_f32 v[160:161], v[116:117], v[158:159] op_sel_hi:[0,1]
	v_pk_fma_f32 v[182:183], v[18:19], v[158:159], v[160:161] op_sel:[0,0,1] op_sel_hi:[1,1,0]
	v_pk_fma_f32 v[184:185], v[18:19], v[158:159], v[160:161] op_sel:[0,0,1] op_sel_hi:[0,1,0] neg_lo:[0,0,1] neg_hi:[0,0,1]
	ds_read2_b64 v[158:161], v117 offset1:27
	s_waitcnt lgkmcnt(1)
	v_pk_mul_f32 v[186:187], v[16:17], v[156:157] op_sel:[1,0]
	v_mov_b32_e32 v183, v185
	v_pk_fma_f32 v[188:189], v[16:17], v[156:157], v[186:187] op_sel:[0,0,1] op_sel_hi:[1,1,0]
	v_pk_fma_f32 v[16:17], v[16:17], v[156:157], v[186:187] op_sel:[0,0,1] op_sel_hi:[0,1,0] neg_lo:[0,0,1] neg_hi:[0,0,1]
	v_mov_b32_e32 v189, v17
	s_waitcnt lgkmcnt(0)
	v_pk_add_f32 v[16:17], v[158:159], v[188:189]
	v_pk_add_f32 v[156:157], v[188:189], v[182:183]
	;; [unrolled: 1-line block ×3, first 2 shown]
	v_pk_add_f32 v[182:183], v[188:189], v[182:183] neg_lo:[0,1] neg_hi:[0,1]
	v_pk_fma_f32 v[156:157], v[156:157], 0.5, v[158:159] op_sel_hi:[1,0,1] neg_lo:[1,0,0] neg_hi:[1,0,0]
	v_pk_mul_f32 v[158:159], v[182:183], s[2:3] op_sel_hi:[1,0]
	v_mov_b32_e32 v175, v13
	v_pk_add_f32 v[182:183], v[156:157], v[158:159] op_sel:[0,1] op_sel_hi:[1,0] neg_lo:[0,1] neg_hi:[0,1]
	v_pk_add_f32 v[184:185], v[156:157], v[158:159] op_sel:[0,1] op_sel_hi:[1,0]
	v_mov_b32_e32 v186, v182
	v_mov_b32_e32 v187, v185
	;; [unrolled: 1-line block ×4, first 2 shown]
	ds_read2_b64 v[156:159], v117 offset0:54 offset1:81
	s_waitcnt lgkmcnt(0)
	s_barrier
	ds_write2_b64 v3, v[16:17], v[186:187] offset1:5
	ds_write_b64 v3, v[184:185] offset:80
	v_pk_add_f32 v[2:3], v[174:175], v[180:181]
	v_pk_add_f32 v[16:17], v[174:175], v[180:181] neg_lo:[0,1] neg_hi:[0,1]
	v_pk_fma_f32 v[2:3], v[2:3], 0.5, v[160:161] op_sel_hi:[1,0,1] neg_lo:[1,0,0] neg_hi:[1,0,0]
	v_pk_mul_f32 v[16:17], v[16:17], s[2:3] op_sel_hi:[1,0]
	v_pk_add_f32 v[12:13], v[160:161], v[174:175]
	v_pk_add_f32 v[160:161], v[2:3], v[16:17] op_sel:[0,1] op_sel_hi:[1,0] neg_lo:[0,1] neg_hi:[0,1]
	v_pk_add_f32 v[2:3], v[2:3], v[16:17] op_sel:[0,1] op_sel_hi:[1,0]
	v_pk_add_f32 v[12:13], v[12:13], v[180:181]
	v_mov_b32_e32 v16, v160
	v_mov_b32_e32 v17, v3
	;; [unrolled: 1-line block ×4, first 2 shown]
	ds_write2_b64 v11, v[12:13], v[16:17] offset1:5
	ds_write_b64 v11, v[2:3] offset:80
	v_pk_add_f32 v[8:9], v[176:177], v[170:171]
	v_pk_add_f32 v[10:11], v[176:177], v[170:171] neg_lo:[0,1] neg_hi:[0,1]
	v_pk_fma_f32 v[8:9], v[8:9], 0.5, v[156:157] op_sel_hi:[1,0,1] neg_lo:[1,0,0] neg_hi:[1,0,0]
	v_pk_mul_f32 v[10:11], v[10:11], s[2:3] op_sel_hi:[1,0]
	v_mov_b32_e32 v165, v1
	v_pk_add_f32 v[12:13], v[8:9], v[10:11] op_sel:[0,1] op_sel_hi:[1,0] neg_lo:[0,1] neg_hi:[0,1]
	v_pk_add_f32 v[8:9], v[8:9], v[10:11] op_sel:[0,1] op_sel_hi:[1,0]
	v_mov_b32_e32 v169, v121
	v_mov_b32_e32 v11, v9
	;; [unrolled: 1-line block ×3, first 2 shown]
	v_pk_add_f32 v[2:3], v[156:157], v[176:177]
	ds_write_b64 v15, v[8:9] offset:80
	v_pk_add_f32 v[0:1], v[164:165], v[168:169]
	v_pk_add_f32 v[8:9], v[164:165], v[168:169] neg_lo:[0,1] neg_hi:[0,1]
	v_pk_add_f32 v[2:3], v[2:3], v[170:171]
	v_mov_b32_e32 v10, v12
	v_pk_fma_f32 v[0:1], v[0:1], 0.5, v[158:159] op_sel_hi:[1,0,1] neg_lo:[1,0,0] neg_hi:[1,0,0]
	v_pk_mul_f32 v[8:9], v[8:9], s[2:3] op_sel_hi:[1,0]
	ds_write2_b64 v15, v[2:3], v[10:11] offset1:5
	v_pk_add_f32 v[10:11], v[0:1], v[8:9] op_sel:[0,1] op_sel_hi:[1,0] neg_lo:[0,1] neg_hi:[0,1]
	v_pk_add_f32 v[0:1], v[0:1], v[8:9] op_sel:[0,1] op_sel_hi:[1,0]
	v_mov_b32_e32 v167, v5
	v_mov_b32_e32 v9, v1
	v_mov_b32_e32 v1, v11
	v_pk_add_f32 v[2:3], v[158:159], v[164:165]
	ds_write_b64 v19, v[0:1] offset:80
	v_pk_add_f32 v[0:1], v[166:167], v[162:163]
	v_pk_add_f32 v[4:5], v[166:167], v[162:163] neg_lo:[0,1] neg_hi:[0,1]
	v_pk_add_f32 v[2:3], v[2:3], v[168:169]
	v_mov_b32_e32 v8, v10
	v_pk_fma_f32 v[0:1], v[0:1], 0.5, v[154:155] op_sel_hi:[1,0,1] neg_lo:[1,0,0] neg_hi:[1,0,0]
	v_pk_mul_f32 v[4:5], v[4:5], s[2:3] op_sel_hi:[1,0]
	ds_write2_b64 v19, v[2:3], v[8:9] offset1:5
	v_pk_add_f32 v[2:3], v[154:155], v[166:167]
	v_pk_add_f32 v[8:9], v[0:1], v[4:5] op_sel:[0,1] op_sel_hi:[1,0] neg_lo:[0,1] neg_hi:[0,1]
	v_pk_add_f32 v[0:1], v[0:1], v[4:5] op_sel:[0,1] op_sel_hi:[1,0]
	v_pk_add_f32 v[2:3], v[2:3], v[162:163]
	v_mov_b32_e32 v4, v8
	v_mov_b32_e32 v5, v1
	;; [unrolled: 1-line block ×3, first 2 shown]
	ds_write2_b64 v7, v[2:3], v[4:5] offset1:5
	ds_write_b64 v7, v[0:1] offset:80
	s_waitcnt lgkmcnt(0)
	s_barrier
	ds_read_b64 v[4:5], v117 offset:3024
	ds_read2_b64 v[0:3], v117 offset0:216 offset1:243
	s_waitcnt lgkmcnt(1)
	v_pk_mul_f32 v[6:7], v[142:143], v[4:5] op_sel_hi:[0,1]
	v_pk_fma_f32 v[8:9], v[22:23], v[4:5], v[6:7] op_sel:[0,0,1] op_sel_hi:[1,1,0]
	v_pk_fma_f32 v[10:11], v[22:23], v[4:5], v[6:7] op_sel:[0,0,1] op_sel_hi:[0,1,0] neg_lo:[0,0,1] neg_hi:[0,0,1]
	ds_read2_b64 v[4:7], v119 offset0:68 offset1:95
	s_waitcnt lgkmcnt(1)
	v_pk_mul_f32 v[12:13], v[20:21], v[2:3] op_sel:[1,0]
	v_mov_b32_e32 v9, v11
	v_pk_fma_f32 v[14:15], v[20:21], v[2:3], v[12:13] op_sel:[0,0,1] op_sel_hi:[1,1,0]
	v_pk_fma_f32 v[12:13], v[20:21], v[2:3], v[12:13] op_sel:[0,0,1] op_sel_hi:[0,1,0] neg_lo:[0,0,1] neg_hi:[0,0,1]
	v_pk_mul_f32 v[2:3], v[24:25], v[0:1] op_sel:[1,0]
	s_waitcnt lgkmcnt(0)
	v_pk_mul_f32 v[20:21], v[128:129], v[6:7] op_sel_hi:[0,1]
	v_pk_fma_f32 v[16:17], v[24:25], v[0:1], v[2:3] op_sel:[0,0,1] op_sel_hi:[1,1,0]
	v_pk_fma_f32 v[18:19], v[24:25], v[0:1], v[2:3] op_sel:[0,0,1] op_sel_hi:[0,1,0] neg_lo:[0,0,1] neg_hi:[0,0,1]
	ds_read2_b64 v[0:3], v117 offset0:162 offset1:189
	v_pk_fma_f32 v[24:25], v[26:27], v[6:7], v[20:21] op_sel:[0,0,1] op_sel_hi:[1,1,0]
	v_pk_fma_f32 v[20:21], v[26:27], v[6:7], v[20:21] op_sel:[0,0,1] op_sel_hi:[0,1,0] neg_lo:[0,0,1] neg_hi:[0,0,1]
	v_pk_mul_f32 v[6:7], v[126:127], v[4:5] op_sel_hi:[0,1]
	v_pk_fma_f32 v[120:121], v[30:31], v[4:5], v[6:7] op_sel:[0,0,1] op_sel_hi:[1,1,0]
	v_pk_fma_f32 v[126:127], v[30:31], v[4:5], v[6:7] op_sel:[0,0,1] op_sel_hi:[0,1,0] neg_lo:[0,0,1] neg_hi:[0,0,1]
	ds_read2_b64 v[4:7], v119 offset0:14 offset1:41
	s_waitcnt lgkmcnt(1)
	v_pk_mul_f32 v[128:129], v[28:29], v[2:3] op_sel:[1,0]
	v_mov_b32_e32 v121, v127
	v_pk_fma_f32 v[130:131], v[28:29], v[2:3], v[128:129] op_sel:[0,0,1] op_sel_hi:[1,1,0]
	v_pk_fma_f32 v[28:29], v[28:29], v[2:3], v[128:129] op_sel:[0,0,1] op_sel_hi:[0,1,0] neg_lo:[0,0,1] neg_hi:[0,0,1]
	v_pk_mul_f32 v[2:3], v[32:33], v[0:1] op_sel:[1,0]
	s_waitcnt lgkmcnt(0)
	v_pk_mul_f32 v[124:125], v[124:125], v[6:7] op_sel_hi:[0,1]
	v_pk_fma_f32 v[128:129], v[32:33], v[0:1], v[2:3] op_sel:[0,0,1] op_sel_hi:[1,1,0]
	v_pk_fma_f32 v[32:33], v[32:33], v[0:1], v[2:3] op_sel:[0,0,1] op_sel_hi:[0,1,0] neg_lo:[0,0,1] neg_hi:[0,0,1]
	ds_read2_b64 v[0:3], v117 offset0:108 offset1:135
	v_pk_fma_f32 v[142:143], v[34:35], v[6:7], v[124:125] op_sel:[0,0,1] op_sel_hi:[1,1,0]
	v_pk_fma_f32 v[124:125], v[34:35], v[6:7], v[124:125] op_sel:[0,0,1] op_sel_hi:[0,1,0] neg_lo:[0,0,1] neg_hi:[0,0,1]
	v_pk_mul_f32 v[6:7], v[122:123], v[4:5] op_sel_hi:[0,1]
	v_pk_fma_f32 v[122:123], v[38:39], v[4:5], v[6:7] op_sel:[0,0,1] op_sel_hi:[1,1,0]
	v_pk_fma_f32 v[154:155], v[38:39], v[4:5], v[6:7] op_sel:[0,0,1] op_sel_hi:[0,1,0] neg_lo:[0,0,1] neg_hi:[0,0,1]
	ds_read2_b64 v[4:7], v117 offset1:27
	s_waitcnt lgkmcnt(1)
	v_pk_mul_f32 v[156:157], v[36:37], v[2:3] op_sel:[1,0]
	v_mov_b32_e32 v123, v155
	v_pk_fma_f32 v[158:159], v[36:37], v[2:3], v[156:157] op_sel:[0,0,1] op_sel_hi:[1,1,0]
	v_pk_fma_f32 v[2:3], v[36:37], v[2:3], v[156:157] op_sel:[0,0,1] op_sel_hi:[0,1,0] neg_lo:[0,0,1] neg_hi:[0,0,1]
	v_mov_b32_e32 v159, v3
	s_waitcnt lgkmcnt(0)
	v_pk_add_f32 v[2:3], v[4:5], v[158:159]
	v_mov_b32_e32 v129, v33
	v_pk_add_f32 v[36:37], v[2:3], v[122:123]
	v_pk_add_f32 v[2:3], v[158:159], v[122:123]
	v_pk_add_f32 v[122:123], v[158:159], v[122:123] neg_lo:[0,1] neg_hi:[0,1]
	v_pk_fma_f32 v[2:3], v[2:3], 0.5, v[4:5] op_sel_hi:[1,0,1] neg_lo:[1,0,0] neg_hi:[1,0,0]
	v_pk_mul_f32 v[4:5], v[122:123], s[2:3] op_sel_hi:[1,0]
	v_mov_b32_e32 v143, v125
	v_pk_add_f32 v[122:123], v[2:3], v[4:5] op_sel:[0,1] op_sel_hi:[1,0] neg_lo:[0,1] neg_hi:[0,1]
	v_pk_add_f32 v[154:155], v[2:3], v[4:5] op_sel:[0,1] op_sel_hi:[1,0]
	v_mov_b32_e32 v156, v122
	v_mov_b32_e32 v157, v155
	;; [unrolled: 1-line block ×3, first 2 shown]
	ds_read2_b64 v[2:5], v117 offset0:54 offset1:81
	s_waitcnt lgkmcnt(0)
	s_barrier
	ds_write2_b64 v27, v[36:37], v[156:157] offset1:15
	ds_write_b64 v27, v[154:155] offset:240
	v_pk_add_f32 v[26:27], v[128:129], v[142:143]
	v_pk_add_f32 v[32:33], v[128:129], v[142:143] neg_lo:[0,1] neg_hi:[0,1]
	v_pk_fma_f32 v[26:27], v[26:27], 0.5, v[6:7] op_sel_hi:[1,0,1] neg_lo:[1,0,0] neg_hi:[1,0,0]
	v_pk_mul_f32 v[32:33], v[32:33], s[2:3] op_sel_hi:[1,0]
	v_pk_add_f32 v[6:7], v[6:7], v[128:129]
	v_pk_add_f32 v[36:37], v[26:27], v[32:33] op_sel:[0,1] op_sel_hi:[1,0] neg_lo:[0,1] neg_hi:[0,1]
	v_pk_add_f32 v[26:27], v[26:27], v[32:33] op_sel:[0,1] op_sel_hi:[1,0]
	v_mov_b32_e32 v131, v29
	v_mov_b32_e32 v33, v27
	;; [unrolled: 1-line block ×3, first 2 shown]
	v_pk_add_f32 v[6:7], v[6:7], v[142:143]
	v_mov_b32_e32 v32, v36
	ds_write_b64 v31, v[26:27] offset:240
	v_pk_add_f32 v[26:27], v[130:131], v[120:121]
	v_pk_add_f32 v[28:29], v[130:131], v[120:121] neg_lo:[0,1] neg_hi:[0,1]
	ds_write2_b64 v31, v[6:7], v[32:33] offset1:15
	v_pk_add_f32 v[6:7], v[2:3], v[130:131]
	v_pk_fma_f32 v[2:3], v[26:27], 0.5, v[2:3] op_sel_hi:[1,0,1] neg_lo:[1,0,0] neg_hi:[1,0,0]
	v_pk_mul_f32 v[26:27], v[28:29], s[2:3] op_sel_hi:[1,0]
	v_pk_add_f32 v[6:7], v[6:7], v[120:121]
	v_pk_add_f32 v[28:29], v[2:3], v[26:27] op_sel:[0,1] op_sel_hi:[1,0] neg_lo:[0,1] neg_hi:[0,1]
	v_pk_add_f32 v[2:3], v[2:3], v[26:27] op_sel:[0,1] op_sel_hi:[1,0]
	v_mov_b32_e32 v26, v28
	v_mov_b32_e32 v27, v3
	;; [unrolled: 1-line block ×5, first 2 shown]
	ds_write2_b64 v35, v[6:7], v[26:27] offset1:15
	ds_write_b64 v35, v[2:3] offset:240
	v_pk_add_f32 v[2:3], v[16:17], v[24:25]
	v_pk_add_f32 v[6:7], v[16:17], v[24:25] neg_lo:[0,1] neg_hi:[0,1]
	v_pk_fma_f32 v[2:3], v[2:3], 0.5, v[4:5] op_sel_hi:[1,0,1] neg_lo:[1,0,0] neg_hi:[1,0,0]
	v_pk_mul_f32 v[6:7], v[6:7], s[2:3] op_sel_hi:[1,0]
	v_pk_add_f32 v[4:5], v[4:5], v[16:17]
	v_pk_add_f32 v[16:17], v[2:3], v[6:7] op_sel:[0,1] op_sel_hi:[1,0] neg_lo:[0,1] neg_hi:[0,1]
	v_pk_add_f32 v[2:3], v[2:3], v[6:7] op_sel:[0,1] op_sel_hi:[1,0]
	v_pk_add_f32 v[4:5], v[4:5], v[24:25]
	v_mov_b32_e32 v6, v16
	v_mov_b32_e32 v7, v3
	;; [unrolled: 1-line block ×4, first 2 shown]
	ds_write2_b64 v39, v[4:5], v[6:7] offset1:15
	ds_write_b64 v39, v[2:3] offset:240
	v_pk_add_f32 v[2:3], v[14:15], v[8:9]
	v_pk_add_f32 v[4:5], v[14:15], v[8:9] neg_lo:[0,1] neg_hi:[0,1]
	v_pk_fma_f32 v[2:3], v[2:3], 0.5, v[0:1] op_sel_hi:[1,0,1] neg_lo:[1,0,0] neg_hi:[1,0,0]
	v_pk_mul_f32 v[4:5], v[4:5], s[2:3] op_sel_hi:[1,0]
	v_pk_add_f32 v[0:1], v[0:1], v[14:15]
	v_pk_add_f32 v[6:7], v[2:3], v[4:5] op_sel:[0,1] op_sel_hi:[1,0] neg_lo:[0,1] neg_hi:[0,1]
	v_pk_add_f32 v[2:3], v[2:3], v[4:5] op_sel:[0,1] op_sel_hi:[1,0]
	v_pk_add_f32 v[0:1], v[0:1], v[8:9]
	v_mov_b32_e32 v4, v6
	v_mov_b32_e32 v5, v3
	;; [unrolled: 1-line block ×3, first 2 shown]
	ds_write2_b64 v23, v[0:1], v[4:5] offset1:15
	ds_write_b64 v23, v[2:3] offset:240
	s_waitcnt lgkmcnt(0)
	s_barrier
	ds_read_b64 v[4:5], v117 offset:3024
	ds_read2_b64 v[0:3], v117 offset0:216 offset1:243
	s_waitcnt lgkmcnt(1)
	v_pk_mul_f32 v[6:7], v[150:151], v[4:5] op_sel_hi:[0,1]
	v_pk_fma_f32 v[8:9], v[42:43], v[4:5], v[6:7] op_sel:[0,0,1] op_sel_hi:[1,1,0]
	v_pk_fma_f32 v[10:11], v[42:43], v[4:5], v[6:7] op_sel:[0,0,1] op_sel_hi:[0,1,0] neg_lo:[0,0,1] neg_hi:[0,0,1]
	ds_read2_b64 v[4:7], v119 offset0:68 offset1:95
	s_waitcnt lgkmcnt(1)
	v_pk_mul_f32 v[12:13], v[40:41], v[2:3] op_sel:[1,0]
	v_mov_b32_e32 v9, v11
	v_pk_fma_f32 v[14:15], v[40:41], v[2:3], v[12:13] op_sel:[0,0,1] op_sel_hi:[1,1,0]
	v_pk_fma_f32 v[12:13], v[40:41], v[2:3], v[12:13] op_sel:[0,0,1] op_sel_hi:[0,1,0] neg_lo:[0,0,1] neg_hi:[0,0,1]
	v_pk_mul_f32 v[2:3], v[44:45], v[0:1] op_sel:[1,0]
	s_waitcnt lgkmcnt(0)
	v_pk_mul_f32 v[20:21], v[138:139], v[6:7] op_sel_hi:[0,1]
	v_pk_fma_f32 v[16:17], v[44:45], v[0:1], v[2:3] op_sel:[0,0,1] op_sel_hi:[1,1,0]
	v_pk_fma_f32 v[18:19], v[44:45], v[0:1], v[2:3] op_sel:[0,0,1] op_sel_hi:[0,1,0] neg_lo:[0,0,1] neg_hi:[0,0,1]
	ds_read2_b64 v[0:3], v117 offset0:162 offset1:189
	v_pk_fma_f32 v[22:23], v[46:47], v[6:7], v[20:21] op_sel:[0,0,1] op_sel_hi:[1,1,0]
	v_pk_fma_f32 v[20:21], v[46:47], v[6:7], v[20:21] op_sel:[0,0,1] op_sel_hi:[0,1,0] neg_lo:[0,0,1] neg_hi:[0,0,1]
	v_pk_mul_f32 v[6:7], v[134:135], v[4:5] op_sel_hi:[0,1]
	v_pk_fma_f32 v[24:25], v[54:55], v[4:5], v[6:7] op_sel:[0,0,1] op_sel_hi:[1,1,0]
	v_pk_fma_f32 v[26:27], v[54:55], v[4:5], v[6:7] op_sel:[0,0,1] op_sel_hi:[0,1,0] neg_lo:[0,0,1] neg_hi:[0,0,1]
	ds_read2_b64 v[4:7], v119 offset0:14 offset1:41
	s_waitcnt lgkmcnt(1)
	v_pk_mul_f32 v[28:29], v[52:53], v[2:3] op_sel:[1,0]
	v_mov_b32_e32 v25, v27
	v_pk_fma_f32 v[30:31], v[52:53], v[2:3], v[28:29] op_sel:[0,0,1] op_sel_hi:[1,1,0]
	v_pk_fma_f32 v[28:29], v[52:53], v[2:3], v[28:29] op_sel:[0,0,1] op_sel_hi:[0,1,0] neg_lo:[0,0,1] neg_hi:[0,0,1]
	v_pk_mul_f32 v[2:3], v[56:57], v[0:1] op_sel:[1,0]
	s_waitcnt lgkmcnt(0)
	v_pk_mul_f32 v[36:37], v[136:137], v[6:7] op_sel_hi:[0,1]
	v_pk_fma_f32 v[32:33], v[56:57], v[0:1], v[2:3] op_sel:[0,0,1] op_sel_hi:[1,1,0]
	v_pk_fma_f32 v[34:35], v[56:57], v[0:1], v[2:3] op_sel:[0,0,1] op_sel_hi:[0,1,0] neg_lo:[0,0,1] neg_hi:[0,0,1]
	ds_read2_b64 v[0:3], v117 offset0:108 offset1:135
	v_pk_fma_f32 v[38:39], v[58:59], v[6:7], v[36:37] op_sel:[0,0,1] op_sel_hi:[1,1,0]
	v_pk_fma_f32 v[36:37], v[58:59], v[6:7], v[36:37] op_sel:[0,0,1] op_sel_hi:[0,1,0] neg_lo:[0,0,1] neg_hi:[0,0,1]
	v_pk_mul_f32 v[6:7], v[132:133], v[4:5] op_sel_hi:[0,1]
	v_pk_fma_f32 v[40:41], v[62:63], v[4:5], v[6:7] op_sel:[0,0,1] op_sel_hi:[1,1,0]
	v_pk_fma_f32 v[44:45], v[62:63], v[4:5], v[6:7] op_sel:[0,0,1] op_sel_hi:[0,1,0] neg_lo:[0,0,1] neg_hi:[0,0,1]
	ds_read2_b64 v[4:7], v117 offset1:27
	s_waitcnt lgkmcnt(1)
	v_pk_mul_f32 v[52:53], v[60:61], v[2:3] op_sel:[1,0]
	v_mov_b32_e32 v41, v45
	v_pk_fma_f32 v[56:57], v[60:61], v[2:3], v[52:53] op_sel:[0,0,1] op_sel_hi:[1,1,0]
	v_pk_fma_f32 v[2:3], v[60:61], v[2:3], v[52:53] op_sel:[0,0,1] op_sel_hi:[0,1,0] neg_lo:[0,0,1] neg_hi:[0,0,1]
	v_mov_b32_e32 v57, v3
	s_waitcnt lgkmcnt(0)
	v_pk_add_f32 v[2:3], v[4:5], v[56:57]
	v_mov_b32_e32 v33, v35
	v_pk_add_f32 v[44:45], v[2:3], v[40:41]
	v_pk_add_f32 v[2:3], v[56:57], v[40:41]
	v_pk_add_f32 v[40:41], v[56:57], v[40:41] neg_lo:[0,1] neg_hi:[0,1]
	v_mov_b32_e32 v39, v37
	v_pk_fma_f32 v[2:3], v[2:3], 0.5, v[4:5] op_sel_hi:[1,0,1] neg_lo:[1,0,0] neg_hi:[1,0,0]
	v_pk_mul_f32 v[4:5], v[40:41], s[2:3] op_sel_hi:[1,0]
	v_pk_add_f32 v[34:35], v[32:33], v[38:39]
	v_pk_add_f32 v[40:41], v[2:3], v[4:5] op_sel:[0,1] op_sel_hi:[1,0]
	v_pk_add_f32 v[52:53], v[2:3], v[4:5] op_sel:[0,1] op_sel_hi:[1,0] neg_lo:[0,1] neg_hi:[0,1]
	ds_read2_b64 v[2:5], v117 offset0:54 offset1:81
	v_pk_fma_f32 v[34:35], v[34:35], 0.5, v[6:7] op_sel_hi:[1,0,1] neg_lo:[1,0,0] neg_hi:[1,0,0]
	v_pk_add_f32 v[6:7], v[6:7], v[32:33]
	v_pk_add_f32 v[32:33], v[32:33], v[38:39] neg_lo:[0,1] neg_hi:[0,1]
	v_mov_b32_e32 v56, v52
	v_pk_mul_f32 v[32:33], v[32:33], s[2:3] op_sel_hi:[1,0]
	v_mov_b32_e32 v57, v41
	v_pk_add_f32 v[36:37], v[34:35], v[32:33] op_sel:[0,1] op_sel_hi:[1,0] neg_lo:[0,1] neg_hi:[0,1]
	v_pk_add_f32 v[32:33], v[34:35], v[32:33] op_sel:[0,1] op_sel_hi:[1,0]
	v_mov_b32_e32 v41, v53
	v_pk_add_f32 v[6:7], v[6:7], v[38:39]
	v_mov_b32_e32 v34, v36
	v_mov_b32_e32 v35, v33
	;; [unrolled: 1-line block ×3, first 2 shown]
	s_waitcnt lgkmcnt(0)
	s_barrier
	ds_write2_b64 v117, v[44:45], v[56:57] offset1:45
	ds_write_b64 v117, v[40:41] offset:720
	ds_write2_b64 v47, v[6:7], v[34:35] offset1:45
	v_pk_add_f32 v[6:7], v[30:31], v[24:25]
	v_pk_add_f32 v[26:27], v[30:31], v[24:25] neg_lo:[0,1] neg_hi:[0,1]
	v_pk_fma_f32 v[6:7], v[6:7], 0.5, v[2:3] op_sel_hi:[1,0,1] neg_lo:[1,0,0] neg_hi:[1,0,0]
	v_pk_mul_f32 v[26:27], v[26:27], s[2:3] op_sel_hi:[1,0]
	v_pk_add_f32 v[2:3], v[2:3], v[30:31]
	v_pk_add_f32 v[28:29], v[6:7], v[26:27] op_sel:[0,1] op_sel_hi:[1,0]
	v_pk_add_f32 v[6:7], v[6:7], v[26:27] op_sel:[0,1] op_sel_hi:[1,0] neg_lo:[0,1] neg_hi:[0,1]
	v_mov_b32_e32 v33, v37
	v_pk_add_f32 v[2:3], v[2:3], v[24:25]
	v_mov_b32_e32 v24, v6
	v_mov_b32_e32 v25, v29
	;; [unrolled: 1-line block ×4, first 2 shown]
	ds_write_b64 v47, v[32:33] offset:720
	ds_write2_b64 v117, v[2:3], v[24:25] offset0:144 offset1:189
	v_pk_add_f32 v[2:3], v[16:17], v[22:23]
	v_mov_b32_e32 v29, v7
	v_pk_add_f32 v[6:7], v[16:17], v[22:23] neg_lo:[0,1] neg_hi:[0,1]
	v_pk_fma_f32 v[2:3], v[2:3], 0.5, v[4:5] op_sel_hi:[1,0,1] neg_lo:[1,0,0] neg_hi:[1,0,0]
	v_pk_mul_f32 v[6:7], v[6:7], s[2:3] op_sel_hi:[1,0]
	v_pk_add_f32 v[4:5], v[4:5], v[16:17]
	v_pk_add_f32 v[16:17], v[2:3], v[6:7] op_sel:[0,1] op_sel_hi:[1,0] neg_lo:[0,1] neg_hi:[0,1]
	v_pk_add_f32 v[2:3], v[2:3], v[6:7] op_sel:[0,1] op_sel_hi:[1,0]
	v_pk_add_f32 v[4:5], v[4:5], v[22:23]
	v_mov_b32_e32 v6, v16
	v_mov_b32_e32 v7, v3
	;; [unrolled: 1-line block ×4, first 2 shown]
	ds_write_b64 v117, v[28:29] offset:1872
	ds_write2_b64 v55, v[4:5], v[6:7] offset1:45
	ds_write_b64 v55, v[2:3] offset:720
	v_pk_add_f32 v[2:3], v[14:15], v[8:9]
	v_pk_add_f32 v[4:5], v[14:15], v[8:9] neg_lo:[0,1] neg_hi:[0,1]
	v_pk_fma_f32 v[2:3], v[2:3], 0.5, v[0:1] op_sel_hi:[1,0,1] neg_lo:[1,0,0] neg_hi:[1,0,0]
	v_pk_mul_f32 v[4:5], v[4:5], s[2:3] op_sel_hi:[1,0]
	v_pk_add_f32 v[0:1], v[0:1], v[14:15]
	v_pk_add_f32 v[6:7], v[2:3], v[4:5] op_sel:[0,1] op_sel_hi:[1,0] neg_lo:[0,1] neg_hi:[0,1]
	v_pk_add_f32 v[2:3], v[2:3], v[4:5] op_sel:[0,1] op_sel_hi:[1,0]
	v_pk_add_f32 v[0:1], v[0:1], v[8:9]
	v_mov_b32_e32 v4, v6
	v_mov_b32_e32 v5, v3
	;; [unrolled: 1-line block ×3, first 2 shown]
	ds_write2_b64 v107, v[0:1], v[4:5] offset0:14 offset1:59
	ds_write_b64 v43, v[2:3] offset:2880
	s_waitcnt lgkmcnt(0)
	s_barrier
	ds_read_b64 v[4:5], v117 offset:3024
	ds_read2_b64 v[0:3], v117 offset0:216 offset1:243
	s_waitcnt lgkmcnt(1)
	v_pk_mul_f32 v[6:7], v[152:153], v[4:5] op_sel_hi:[0,1]
	v_pk_fma_f32 v[10:11], v[78:79], v[4:5], v[6:7] op_sel:[0,0,1] op_sel_hi:[1,1,0]
	v_pk_fma_f32 v[12:13], v[78:79], v[4:5], v[6:7] op_sel:[0,0,1] op_sel_hi:[0,1,0] neg_lo:[0,0,1] neg_hi:[0,0,1]
	s_waitcnt lgkmcnt(0)
	v_pk_mul_f32 v[8:9], v[76:77], v[2:3] op_sel:[1,0]
	ds_read2_b64 v[4:7], v119 offset0:68 offset1:95
	v_pk_fma_f32 v[14:15], v[76:77], v[2:3], v[8:9] op_sel:[0,0,1] op_sel_hi:[1,1,0]
	v_pk_fma_f32 v[16:17], v[76:77], v[2:3], v[8:9] op_sel:[0,0,1] op_sel_hi:[0,1,0] neg_lo:[0,0,1] neg_hi:[0,0,1]
	v_pk_mul_f32 v[2:3], v[72:73], v[0:1] op_sel:[1,0]
	v_mov_b32_e32 v11, v13
	v_pk_fma_f32 v[18:19], v[72:73], v[0:1], v[2:3] op_sel:[0,0,1] op_sel_hi:[1,1,0]
	v_pk_fma_f32 v[20:21], v[72:73], v[0:1], v[2:3] op_sel:[0,0,1] op_sel_hi:[0,1,0] neg_lo:[0,0,1] neg_hi:[0,0,1]
	ds_read2_b64 v[0:3], v117 offset0:162 offset1:189
	s_waitcnt lgkmcnt(1)
	v_pk_mul_f32 v[8:9], v[148:149], v[6:7] op_sel_hi:[0,1]
	v_pk_fma_f32 v[22:23], v[74:75], v[6:7], v[8:9] op_sel:[0,0,1] op_sel_hi:[1,1,0]
	v_pk_fma_f32 v[24:25], v[74:75], v[6:7], v[8:9] op_sel:[0,0,1] op_sel_hi:[0,1,0] neg_lo:[0,0,1] neg_hi:[0,0,1]
	v_pk_mul_f32 v[6:7], v[146:147], v[4:5] op_sel_hi:[0,1]
	v_pk_fma_f32 v[26:27], v[70:71], v[4:5], v[6:7] op_sel:[0,0,1] op_sel_hi:[1,1,0]
	v_pk_fma_f32 v[28:29], v[70:71], v[4:5], v[6:7] op_sel:[0,0,1] op_sel_hi:[0,1,0] neg_lo:[0,0,1] neg_hi:[0,0,1]
	s_waitcnt lgkmcnt(0)
	v_pk_mul_f32 v[8:9], v[68:69], v[2:3] op_sel:[1,0]
	ds_read2_b64 v[4:7], v119 offset0:14 offset1:41
	v_pk_fma_f32 v[30:31], v[68:69], v[2:3], v[8:9] op_sel:[0,0,1] op_sel_hi:[1,1,0]
	v_pk_fma_f32 v[32:33], v[68:69], v[2:3], v[8:9] op_sel:[0,0,1] op_sel_hi:[0,1,0] neg_lo:[0,0,1] neg_hi:[0,0,1]
	v_pk_mul_f32 v[2:3], v[64:65], v[0:1] op_sel:[1,0]
	v_mov_b32_e32 v23, v25
	v_pk_fma_f32 v[34:35], v[64:65], v[0:1], v[2:3] op_sel:[0,0,1] op_sel_hi:[1,1,0]
	v_pk_fma_f32 v[8:9], v[64:65], v[0:1], v[2:3] op_sel:[0,0,1] op_sel_hi:[0,1,0] neg_lo:[0,0,1] neg_hi:[0,0,1]
	ds_read2_b64 v[0:3], v117 offset0:108 offset1:135
	s_waitcnt lgkmcnt(1)
	v_pk_mul_f32 v[36:37], v[144:145], v[6:7] op_sel_hi:[0,1]
	v_pk_fma_f32 v[38:39], v[66:67], v[6:7], v[36:37] op_sel:[0,0,1] op_sel_hi:[1,1,0]
	v_pk_fma_f32 v[6:7], v[66:67], v[6:7], v[36:37] op_sel:[0,0,1] op_sel_hi:[0,1,0] neg_lo:[0,0,1] neg_hi:[0,0,1]
	v_pk_mul_f32 v[36:37], v[140:141], v[4:5] op_sel_hi:[0,1]
	v_pk_fma_f32 v[40:41], v[50:51], v[4:5], v[36:37] op_sel:[0,0,1] op_sel_hi:[1,1,0]
	v_pk_fma_f32 v[36:37], v[50:51], v[4:5], v[36:37] op_sel:[0,0,1] op_sel_hi:[0,1,0] neg_lo:[0,0,1] neg_hi:[0,0,1]
	s_waitcnt lgkmcnt(0)
	v_pk_mul_f32 v[4:5], v[48:49], v[2:3] op_sel:[1,0]
	v_mov_b32_e32 v41, v37
	v_pk_fma_f32 v[42:43], v[48:49], v[2:3], v[4:5] op_sel:[0,0,1] op_sel_hi:[1,1,0]
	v_pk_fma_f32 v[44:45], v[48:49], v[2:3], v[4:5] op_sel:[0,0,1] op_sel_hi:[0,1,0] neg_lo:[0,0,1] neg_hi:[0,0,1]
	ds_read2_b64 v[2:5], v117 offset1:27
	v_mov_b32_e32 v43, v45
	v_mov_b32_e32 v39, v7
	;; [unrolled: 1-line block ×3, first 2 shown]
	v_pk_add_f32 v[8:9], v[42:43], v[40:41] neg_lo:[0,1] neg_hi:[0,1]
	s_waitcnt lgkmcnt(0)
	v_pk_add_f32 v[6:7], v[2:3], v[42:43]
	v_pk_add_f32 v[12:13], v[34:35], v[38:39]
	;; [unrolled: 1-line block ×4, first 2 shown]
	v_pk_add_f32 v[24:25], v[34:35], v[38:39] neg_lo:[0,1] neg_hi:[0,1]
	v_pk_fma_f32 v[2:3], v[6:7], 0.5, v[2:3] op_sel_hi:[1,0,1] neg_lo:[1,0,0] neg_hi:[1,0,0]
	v_pk_mul_f32 v[6:7], v[8:9], s[2:3] op_sel_hi:[1,0]
	v_mov_b32_e32 v31, v33
	v_pk_add_f32 v[40:41], v[2:3], v[6:7] op_sel:[0,1] op_sel_hi:[1,0] neg_lo:[0,1] neg_hi:[0,1]
	v_pk_add_f32 v[2:3], v[2:3], v[6:7] op_sel:[0,1] op_sel_hi:[1,0]
	ds_read2_b64 v[6:9], v117 offset0:54 offset1:81
	v_mov_b32_e32 v43, v3
	v_mov_b32_e32 v3, v41
	ds_write_b64 v117, v[2:3] offset:2160
	v_pk_add_f32 v[2:3], v[4:5], v[34:35]
	v_mov_b32_e32 v42, v40
	v_pk_add_f32 v[2:3], v[2:3], v[38:39]
	v_pk_fma_f32 v[4:5], v[12:13], 0.5, v[4:5] op_sel_hi:[1,0,1] neg_lo:[1,0,0] neg_hi:[1,0,0]
	v_pk_mul_f32 v[24:25], v[24:25], s[2:3] op_sel_hi:[1,0]
	ds_write_b64 v117, v[42:43] offset:1080
	ds_write2_b64 v117, v[36:37], v[2:3] offset1:27
	v_mov_b32_e32 v27, v29
	s_waitcnt lgkmcnt(3)
	v_pk_add_f32 v[2:3], v[6:7], v[30:31]
	v_pk_add_f32 v[32:33], v[4:5], v[24:25] op_sel:[0,1] op_sel_hi:[1,0] neg_lo:[0,1] neg_hi:[0,1]
	v_pk_add_f32 v[4:5], v[4:5], v[24:25] op_sel:[0,1] op_sel_hi:[1,0]
	v_pk_add_f32 v[2:3], v[2:3], v[26:27]
	v_mov_b32_e32 v24, v32
	v_mov_b32_e32 v25, v5
	;; [unrolled: 1-line block ×3, first 2 shown]
	v_pk_add_f32 v[32:33], v[30:31], v[26:27]
	v_pk_add_f32 v[26:27], v[30:31], v[26:27] neg_lo:[0,1] neg_hi:[0,1]
	v_pk_fma_f32 v[6:7], v[32:33], 0.5, v[6:7] op_sel_hi:[1,0,1] neg_lo:[1,0,0] neg_hi:[1,0,0]
	v_pk_mul_f32 v[26:27], v[26:27], s[2:3] op_sel_hi:[1,0]
	v_mov_b32_e32 v19, v21
	v_pk_add_f32 v[30:31], v[6:7], v[26:27] op_sel:[0,1] op_sel_hi:[1,0] neg_lo:[0,1] neg_hi:[0,1]
	v_pk_add_f32 v[6:7], v[6:7], v[26:27] op_sel:[0,1] op_sel_hi:[1,0]
	v_mov_b32_e32 v15, v17
	v_pk_add_f32 v[16:17], v[8:9], v[18:19]
	v_mov_b32_e32 v26, v30
	v_mov_b32_e32 v27, v7
	;; [unrolled: 1-line block ×3, first 2 shown]
	v_pk_add_f32 v[16:17], v[16:17], v[22:23]
	ds_write2_b64 v117, v[24:25], v[26:27] offset0:162 offset1:189
	ds_write2_b64 v119, v[4:5], v[6:7] offset0:41 offset1:68
	;; [unrolled: 1-line block ×3, first 2 shown]
	v_pk_add_f32 v[2:3], v[18:19], v[22:23]
	v_pk_add_f32 v[4:5], v[18:19], v[22:23] neg_lo:[0,1] neg_hi:[0,1]
	v_pk_fma_f32 v[2:3], v[2:3], 0.5, v[8:9] op_sel_hi:[1,0,1] neg_lo:[1,0,0] neg_hi:[1,0,0]
	v_pk_mul_f32 v[4:5], v[4:5], s[2:3] op_sel_hi:[1,0]
	v_pk_add_f32 v[12:13], v[0:1], v[14:15]
	v_pk_add_f32 v[6:7], v[2:3], v[4:5] op_sel:[0,1] op_sel_hi:[1,0] neg_lo:[0,1] neg_hi:[0,1]
	v_pk_add_f32 v[2:3], v[2:3], v[4:5] op_sel:[0,1] op_sel_hi:[1,0]
	v_pk_add_f32 v[12:13], v[12:13], v[10:11]
	v_mov_b32_e32 v5, v3
	v_mov_b32_e32 v3, v7
	ds_write_b64 v117, v[2:3] offset:2808
	ds_write_b64 v117, v[12:13] offset:864
	v_pk_add_f32 v[2:3], v[14:15], v[10:11]
	v_mov_b32_e32 v4, v6
	v_pk_fma_f32 v[0:1], v[2:3], 0.5, v[0:1] op_sel_hi:[1,0,1] neg_lo:[1,0,0] neg_hi:[1,0,0]
	v_pk_add_f32 v[2:3], v[14:15], v[10:11] neg_lo:[0,1] neg_hi:[0,1]
	v_mov_b32_e32 v28, s0
	v_pk_mul_f32 v[2:3], v[2:3], s[2:3] op_sel_hi:[1,0]
	v_mov_b32_e32 v29, s1
	v_pk_add_f32 v[6:7], v[0:1], v[2:3] op_sel:[0,1] op_sel_hi:[1,0] neg_lo:[0,1] neg_hi:[0,1]
	v_pk_add_f32 v[0:1], v[0:1], v[2:3] op_sel:[0,1] op_sel_hi:[1,0]
	v_mov_b32_e32 v2, v6
	v_mov_b32_e32 v3, v1
	;; [unrolled: 1-line block ×3, first 2 shown]
	ds_write2_b64 v117, v[4:5], v[2:3] offset0:216 offset1:243
	ds_write_b64 v117, v[0:1] offset:3024
	s_waitcnt lgkmcnt(0)
	s_barrier
	ds_read2_b64 v[0:3], v117 offset1:27
	v_mad_u64_u32 v[20:21], s[0:1], s6, v98, 0
	v_mov_b32_e32 v4, v21
	v_mad_u64_u32 v[4:5], s[0:1], s7, v98, v[4:5]
	v_mov_b32_e32 v21, v4
	s_waitcnt lgkmcnt(0)
	v_mul_f32_e32 v4, v113, v1
	v_fmac_f32_e32 v4, v112, v0
	v_mul_f32_e32 v0, v113, v0
	s_mov_b32 s0, 0x30abee4d
	v_fma_f32 v0, v112, v1, -v0
	s_mov_b32 s1, 0x3f643a27
	v_cvt_f64_f32_e32 v[0:1], v0
	v_cvt_f64_f32_e32 v[4:5], v4
	v_mul_f64 v[0:1], v[0:1], s[0:1]
	v_mul_f64 v[4:5], v[4:5], s[0:1]
	v_cvt_f32_f64_e32 v9, v[0:1]
	v_mad_u64_u32 v[0:1], s[2:3], s4, v106, 0
	v_cvt_f32_f64_e32 v8, v[4:5]
	v_mov_b32_e32 v4, v1
	v_mad_u64_u32 v[10:11], s[2:3], s5, v106, v[4:5]
	ds_read2_b64 v[4:7], v117 offset0:54 offset1:81
	v_mov_b32_e32 v1, v10
	v_lshl_add_u64 v[10:11], v[20:21], 3, v[28:29]
	v_lshl_add_u64 v[0:1], v[0:1], 3, v[10:11]
	global_store_dwordx2 v[0:1], v[8:9], off
	s_waitcnt lgkmcnt(0)
	v_mul_f32_e32 v8, v111, v7
	v_fmac_f32_e32 v8, v110, v6
	v_mul_f32_e32 v6, v111, v6
	v_fma_f32 v6, v110, v7, -v6
	v_cvt_f64_f32_e32 v[8:9], v8
	v_cvt_f64_f32_e32 v[6:7], v6
	v_mul_f64 v[8:9], v[8:9], s[0:1]
	v_mul_f64 v[6:7], v[6:7], s[0:1]
	v_cvt_f32_f64_e32 v10, v[8:9]
	v_cvt_f32_f64_e32 v11, v[6:7]
	ds_read2_b64 v[6:9], v117 offset0:162 offset1:189
	v_mad_u64_u32 v[0:1], s[2:3], s4, v99, v[0:1]
	s_mul_i32 s2, s5, 0x288
	s_nop 0
	v_add_u32_e32 v1, s2, v1
	global_store_dwordx2 v[0:1], v[10:11], off
	s_waitcnt lgkmcnt(0)
	v_mul_f32_e32 v10, v109, v7
	v_fmac_f32_e32 v10, v108, v6
	v_cvt_f64_f32_e32 v[10:11], v10
	v_mul_f64 v[10:11], v[10:11], s[0:1]
	v_cvt_f32_f64_e32 v14, v[10:11]
	ds_read2_b64 v[10:13], v117 offset0:216 offset1:243
	v_mul_f32_e32 v6, v109, v6
	v_fma_f32 v6, v108, v7, -v6
	v_cvt_f64_f32_e32 v[6:7], v6
	v_mul_f64 v[6:7], v[6:7], s[0:1]
	v_cvt_f32_f64_e32 v15, v[6:7]
	s_waitcnt lgkmcnt(0)
	v_mul_f32_e32 v6, v105, v13
	v_fmac_f32_e32 v6, v104, v12
	v_cvt_f64_f32_e32 v[6:7], v6
	v_mul_f64 v[6:7], v[6:7], s[0:1]
	v_cvt_f32_f64_e32 v6, v[6:7]
	v_mul_f32_e32 v7, v105, v12
	v_fma_f32 v7, v104, v13, -v7
	v_mad_u64_u32 v[0:1], s[6:7], s4, v99, v[0:1]
	v_cvt_f64_f32_e32 v[12:13], v7
	v_add_u32_e32 v1, s2, v1
	v_mul_f64 v[12:13], v[12:13], s[0:1]
	global_store_dwordx2 v[0:1], v[14:15], off
	v_cvt_f32_f64_e32 v7, v[12:13]
	ds_read2_b64 v[12:15], v119 offset0:68 offset1:95
	v_mad_u64_u32 v[0:1], s[6:7], s4, v99, v[0:1]
	v_add_u32_e32 v1, s2, v1
	global_store_dwordx2 v[0:1], v[6:7], off
	s_waitcnt lgkmcnt(0)
	v_mul_f32_e32 v6, v101, v13
	v_fmac_f32_e32 v6, v100, v12
	v_cvt_f64_f32_e32 v[6:7], v6
	v_mul_f64 v[6:7], v[6:7], s[0:1]
	v_cvt_f32_f64_e32 v6, v[6:7]
	v_mul_f32_e32 v7, v101, v12
	v_fma_f32 v7, v100, v13, -v7
	v_cvt_f64_f32_e32 v[12:13], v7
	v_mul_f64 v[12:13], v[12:13], s[0:1]
	v_mad_u64_u32 v[0:1], s[6:7], s4, v99, v[0:1]
	v_cvt_f32_f64_e32 v7, v[12:13]
	v_add_u32_e32 v1, s2, v1
	global_store_dwordx2 v[0:1], v[6:7], off
	v_mul_f32_e32 v6, v103, v3
	v_fmac_f32_e32 v6, v102, v2
	v_mul_f32_e32 v2, v103, v2
	v_fma_f32 v2, v102, v3, -v2
	v_cvt_f64_f32_e32 v[6:7], v6
	v_cvt_f64_f32_e32 v[2:3], v2
	v_mul_f64 v[6:7], v[6:7], s[0:1]
	v_mul_f64 v[2:3], v[2:3], s[0:1]
	v_cvt_f32_f64_e32 v6, v[6:7]
	v_cvt_f32_f64_e32 v7, v[2:3]
	v_mad_u64_u32 v[12:13], s[6:7], s4, v115, v[0:1]
	ds_read2_b64 v[0:3], v117 offset0:108 offset1:135
	s_mul_i32 s3, s5, 0xfffff6b8
	s_sub_i32 s3, s3, s4
	v_add_u32_e32 v13, s3, v13
	global_store_dwordx2 v[12:13], v[6:7], off
	s_waitcnt lgkmcnt(0)
	v_mul_f32_e32 v6, v97, v1
	v_fmac_f32_e32 v6, v96, v0
	v_mul_f32_e32 v0, v97, v0
	v_fma_f32 v0, v96, v1, -v0
	v_cvt_f64_f32_e32 v[6:7], v6
	v_cvt_f64_f32_e32 v[0:1], v0
	v_mul_f64 v[6:7], v[6:7], s[0:1]
	v_mul_f64 v[0:1], v[0:1], s[0:1]
	v_cvt_f32_f64_e32 v6, v[6:7]
	v_cvt_f32_f64_e32 v7, v[0:1]
	v_mad_u64_u32 v[0:1], s[6:7], s4, v99, v[12:13]
	v_add_u32_e32 v1, s2, v1
	global_store_dwordx2 v[0:1], v[6:7], off
	v_mul_f32_e32 v6, v95, v9
	v_fmac_f32_e32 v6, v94, v8
	v_cvt_f64_f32_e32 v[6:7], v6
	v_mul_f64 v[6:7], v[6:7], s[0:1]
	v_cvt_f32_f64_e32 v12, v[6:7]
	v_mul_f32_e32 v6, v95, v8
	v_fma_f32 v6, v94, v9, -v6
	v_cvt_f64_f32_e32 v[6:7], v6
	v_mul_f64 v[6:7], v[6:7], s[0:1]
	v_cvt_f32_f64_e32 v13, v[6:7]
	ds_read2_b64 v[6:9], v119 offset0:14 offset1:41
	v_mad_u64_u32 v[0:1], s[6:7], s4, v99, v[0:1]
	v_add_u32_e32 v1, s2, v1
	global_store_dwordx2 v[0:1], v[12:13], off
	s_waitcnt lgkmcnt(0)
	v_mul_f32_e32 v12, v91, v7
	v_fmac_f32_e32 v12, v90, v6
	v_mul_f32_e32 v6, v91, v6
	v_fma_f32 v6, v90, v7, -v6
	v_cvt_f64_f32_e32 v[12:13], v12
	v_cvt_f64_f32_e32 v[6:7], v6
	v_mul_f64 v[12:13], v[12:13], s[0:1]
	v_mul_f64 v[6:7], v[6:7], s[0:1]
	v_cvt_f32_f64_e32 v12, v[12:13]
	v_cvt_f32_f64_e32 v13, v[6:7]
	v_mul_f32_e32 v6, v89, v15
	v_fmac_f32_e32 v6, v88, v14
	v_cvt_f64_f32_e32 v[6:7], v6
	v_mul_f64 v[6:7], v[6:7], s[0:1]
	v_mad_u64_u32 v[0:1], s[6:7], s4, v99, v[0:1]
	v_cvt_f32_f64_e32 v6, v[6:7]
	v_mul_f32_e32 v7, v89, v14
	v_add_u32_e32 v1, s2, v1
	v_fma_f32 v7, v88, v15, -v7
	global_store_dwordx2 v[0:1], v[12:13], off
	v_cvt_f64_f32_e32 v[12:13], v7
	v_mul_f64 v[12:13], v[12:13], s[0:1]
	v_mad_u64_u32 v[0:1], s[6:7], s4, v99, v[0:1]
	v_cvt_f32_f64_e32 v7, v[12:13]
	v_add_u32_e32 v1, s2, v1
	global_store_dwordx2 v[0:1], v[6:7], off
	v_mul_f32_e32 v6, v87, v5
	v_fmac_f32_e32 v6, v86, v4
	v_mul_f32_e32 v4, v87, v4
	v_fma_f32 v4, v86, v5, -v4
	v_cvt_f64_f32_e32 v[6:7], v6
	v_cvt_f64_f32_e32 v[4:5], v4
	v_mul_f64 v[6:7], v[6:7], s[0:1]
	v_mul_f64 v[4:5], v[4:5], s[0:1]
	v_cvt_f32_f64_e32 v6, v[6:7]
	v_cvt_f32_f64_e32 v7, v[4:5]
	v_mul_f32_e32 v4, v85, v3
	v_fmac_f32_e32 v4, v84, v2
	v_mul_f32_e32 v2, v85, v2
	v_fma_f32 v2, v84, v3, -v2
	v_cvt_f64_f32_e32 v[4:5], v4
	v_cvt_f64_f32_e32 v[2:3], v2
	v_mul_f64 v[4:5], v[4:5], s[0:1]
	v_mul_f64 v[2:3], v[2:3], s[0:1]
	v_cvt_f32_f64_e32 v4, v[4:5]
	v_cvt_f32_f64_e32 v5, v[2:3]
	v_mul_f32_e32 v2, v93, v11
	v_fmac_f32_e32 v2, v92, v10
	v_mad_u64_u32 v[0:1], s[6:7], s4, v115, v[0:1]
	v_cvt_f64_f32_e32 v[2:3], v2
	v_add_u32_e32 v1, s3, v1
	v_mul_f64 v[2:3], v[2:3], s[0:1]
	global_store_dwordx2 v[0:1], v[6:7], off
	v_mad_u64_u32 v[0:1], s[6:7], s4, v99, v[0:1]
	v_cvt_f32_f64_e32 v2, v[2:3]
	v_mul_f32_e32 v3, v93, v10
	v_add_u32_e32 v1, s2, v1
	v_fma_f32 v3, v92, v11, -v3
	global_store_dwordx2 v[0:1], v[4:5], off
	v_cvt_f64_f32_e32 v[4:5], v3
	v_mul_f64 v[4:5], v[4:5], s[0:1]
	v_mad_u64_u32 v[0:1], s[6:7], s4, v99, v[0:1]
	v_cvt_f32_f64_e32 v3, v[4:5]
	v_add_u32_e32 v1, s2, v1
	global_store_dwordx2 v[0:1], v[2:3], off
	v_mul_f32_e32 v2, v83, v9
	v_fmac_f32_e32 v2, v82, v8
	v_cvt_f64_f32_e32 v[2:3], v2
	v_mul_f64 v[2:3], v[2:3], s[0:1]
	v_cvt_f32_f64_e32 v2, v[2:3]
	v_mul_f32_e32 v3, v83, v8
	v_fma_f32 v3, v82, v9, -v3
	v_cvt_f64_f32_e32 v[4:5], v3
	v_mul_f64 v[4:5], v[4:5], s[0:1]
	v_cvt_f32_f64_e32 v3, v[4:5]
	ds_read_b64 v[4:5], v117 offset:3024
	v_mad_u64_u32 v[0:1], s[6:7], s4, v99, v[0:1]
	v_add_u32_e32 v1, s2, v1
	global_store_dwordx2 v[0:1], v[2:3], off
	s_waitcnt lgkmcnt(0)
	v_mul_f32_e32 v2, v81, v5
	v_fmac_f32_e32 v2, v80, v4
	v_cvt_f64_f32_e32 v[2:3], v2
	v_mul_f64 v[2:3], v[2:3], s[0:1]
	v_cvt_f32_f64_e32 v2, v[2:3]
	v_mul_f32_e32 v3, v81, v4
	v_fma_f32 v3, v80, v5, -v3
	v_cvt_f64_f32_e32 v[4:5], v3
	v_mul_f64 v[4:5], v[4:5], s[0:1]
	v_mad_u64_u32 v[0:1], s[0:1], s4, v99, v[0:1]
	v_cvt_f32_f64_e32 v3, v[4:5]
	v_add_u32_e32 v1, s2, v1
	global_store_dwordx2 v[0:1], v[2:3], off
.LBB0_2:
	s_endpgm
	.section	.rodata,"a",@progbits
	.p2align	6, 0x0
	.amdhsa_kernel bluestein_single_back_len405_dim1_sp_op_CI_CI
		.amdhsa_group_segment_fixed_size 12960
		.amdhsa_private_segment_fixed_size 0
		.amdhsa_kernarg_size 104
		.amdhsa_user_sgpr_count 2
		.amdhsa_user_sgpr_dispatch_ptr 0
		.amdhsa_user_sgpr_queue_ptr 0
		.amdhsa_user_sgpr_kernarg_segment_ptr 1
		.amdhsa_user_sgpr_dispatch_id 0
		.amdhsa_user_sgpr_kernarg_preload_length 0
		.amdhsa_user_sgpr_kernarg_preload_offset 0
		.amdhsa_user_sgpr_private_segment_size 0
		.amdhsa_uses_dynamic_stack 0
		.amdhsa_enable_private_segment 0
		.amdhsa_system_sgpr_workgroup_id_x 1
		.amdhsa_system_sgpr_workgroup_id_y 0
		.amdhsa_system_sgpr_workgroup_id_z 0
		.amdhsa_system_sgpr_workgroup_info 0
		.amdhsa_system_vgpr_workitem_id 0
		.amdhsa_next_free_vgpr 198
		.amdhsa_next_free_sgpr 22
		.amdhsa_accum_offset 200
		.amdhsa_reserve_vcc 1
		.amdhsa_float_round_mode_32 0
		.amdhsa_float_round_mode_16_64 0
		.amdhsa_float_denorm_mode_32 3
		.amdhsa_float_denorm_mode_16_64 3
		.amdhsa_dx10_clamp 1
		.amdhsa_ieee_mode 1
		.amdhsa_fp16_overflow 0
		.amdhsa_tg_split 0
		.amdhsa_exception_fp_ieee_invalid_op 0
		.amdhsa_exception_fp_denorm_src 0
		.amdhsa_exception_fp_ieee_div_zero 0
		.amdhsa_exception_fp_ieee_overflow 0
		.amdhsa_exception_fp_ieee_underflow 0
		.amdhsa_exception_fp_ieee_inexact 0
		.amdhsa_exception_int_div_zero 0
	.end_amdhsa_kernel
	.text
.Lfunc_end0:
	.size	bluestein_single_back_len405_dim1_sp_op_CI_CI, .Lfunc_end0-bluestein_single_back_len405_dim1_sp_op_CI_CI
                                        ; -- End function
	.section	.AMDGPU.csdata,"",@progbits
; Kernel info:
; codeLenInByte = 13012
; NumSgprs: 28
; NumVgprs: 198
; NumAgprs: 0
; TotalNumVgprs: 198
; ScratchSize: 0
; MemoryBound: 0
; FloatMode: 240
; IeeeMode: 1
; LDSByteSize: 12960 bytes/workgroup (compile time only)
; SGPRBlocks: 3
; VGPRBlocks: 24
; NumSGPRsForWavesPerEU: 28
; NumVGPRsForWavesPerEU: 198
; AccumOffset: 200
; Occupancy: 2
; WaveLimiterHint : 1
; COMPUTE_PGM_RSRC2:SCRATCH_EN: 0
; COMPUTE_PGM_RSRC2:USER_SGPR: 2
; COMPUTE_PGM_RSRC2:TRAP_HANDLER: 0
; COMPUTE_PGM_RSRC2:TGID_X_EN: 1
; COMPUTE_PGM_RSRC2:TGID_Y_EN: 0
; COMPUTE_PGM_RSRC2:TGID_Z_EN: 0
; COMPUTE_PGM_RSRC2:TIDIG_COMP_CNT: 0
; COMPUTE_PGM_RSRC3_GFX90A:ACCUM_OFFSET: 49
; COMPUTE_PGM_RSRC3_GFX90A:TG_SPLIT: 0
	.text
	.p2alignl 6, 3212836864
	.fill 256, 4, 3212836864
	.type	__hip_cuid_af809ad12b80203f,@object ; @__hip_cuid_af809ad12b80203f
	.section	.bss,"aw",@nobits
	.globl	__hip_cuid_af809ad12b80203f
__hip_cuid_af809ad12b80203f:
	.byte	0                               ; 0x0
	.size	__hip_cuid_af809ad12b80203f, 1

	.ident	"AMD clang version 19.0.0git (https://github.com/RadeonOpenCompute/llvm-project roc-6.4.0 25133 c7fe45cf4b819c5991fe208aaa96edf142730f1d)"
	.section	".note.GNU-stack","",@progbits
	.addrsig
	.addrsig_sym __hip_cuid_af809ad12b80203f
	.amdgpu_metadata
---
amdhsa.kernels:
  - .agpr_count:     0
    .args:
      - .actual_access:  read_only
        .address_space:  global
        .offset:         0
        .size:           8
        .value_kind:     global_buffer
      - .actual_access:  read_only
        .address_space:  global
        .offset:         8
        .size:           8
        .value_kind:     global_buffer
      - .actual_access:  read_only
        .address_space:  global
        .offset:         16
        .size:           8
        .value_kind:     global_buffer
      - .actual_access:  read_only
        .address_space:  global
        .offset:         24
        .size:           8
        .value_kind:     global_buffer
      - .actual_access:  read_only
        .address_space:  global
        .offset:         32
        .size:           8
        .value_kind:     global_buffer
      - .offset:         40
        .size:           8
        .value_kind:     by_value
      - .address_space:  global
        .offset:         48
        .size:           8
        .value_kind:     global_buffer
      - .address_space:  global
        .offset:         56
        .size:           8
        .value_kind:     global_buffer
      - .address_space:  global
        .offset:         64
        .size:           8
        .value_kind:     global_buffer
      - .address_space:  global
        .offset:         72
        .size:           8
        .value_kind:     global_buffer
      - .offset:         80
        .size:           4
        .value_kind:     by_value
      - .address_space:  global
        .offset:         88
        .size:           8
        .value_kind:     global_buffer
      - .address_space:  global
        .offset:         96
        .size:           8
        .value_kind:     global_buffer
    .group_segment_fixed_size: 12960
    .kernarg_segment_align: 8
    .kernarg_segment_size: 104
    .language:       OpenCL C
    .language_version:
      - 2
      - 0
    .max_flat_workgroup_size: 108
    .name:           bluestein_single_back_len405_dim1_sp_op_CI_CI
    .private_segment_fixed_size: 0
    .sgpr_count:     28
    .sgpr_spill_count: 0
    .symbol:         bluestein_single_back_len405_dim1_sp_op_CI_CI.kd
    .uniform_work_group_size: 1
    .uses_dynamic_stack: false
    .vgpr_count:     198
    .vgpr_spill_count: 0
    .wavefront_size: 64
amdhsa.target:   amdgcn-amd-amdhsa--gfx950
amdhsa.version:
  - 1
  - 2
...

	.end_amdgpu_metadata
